;; amdgpu-corpus repo=ROCm/rocFFT kind=compiled arch=gfx906 opt=O3
	.text
	.amdgcn_target "amdgcn-amd-amdhsa--gfx906"
	.amdhsa_code_object_version 6
	.protected	bluestein_single_fwd_len1372_dim1_half_op_CI_CI ; -- Begin function bluestein_single_fwd_len1372_dim1_half_op_CI_CI
	.globl	bluestein_single_fwd_len1372_dim1_half_op_CI_CI
	.p2align	8
	.type	bluestein_single_fwd_len1372_dim1_half_op_CI_CI,@function
bluestein_single_fwd_len1372_dim1_half_op_CI_CI: ; @bluestein_single_fwd_len1372_dim1_half_op_CI_CI
; %bb.0:
	s_load_dwordx4 s[16:19], s[4:5], 0x28
	v_mul_u32_u24_e32 v1, 0x29d, v0
	v_lshrrev_b32_e32 v1, 16, v1
	v_lshl_add_u32 v24, s6, 1, v1
	v_mov_b32_e32 v25, 0
	s_waitcnt lgkmcnt(0)
	v_cmp_gt_u64_e32 vcc, s[16:17], v[24:25]
	s_and_saveexec_b64 s[0:1], vcc
	s_cbranch_execz .LBB0_2
; %bb.1:
	s_load_dwordx4 s[8:11], s[4:5], 0x18
	s_load_dwordx4 s[0:3], s[4:5], 0x0
	v_mul_lo_u16_e32 v2, 0x62, v1
	v_sub_u16_e32 v55, v0, v2
	s_load_dwordx2 s[4:5], s[4:5], 0x38
	s_waitcnt lgkmcnt(0)
	s_load_dwordx4 s[12:15], s[8:9], 0x0
	s_waitcnt lgkmcnt(0)
	v_mad_u64_u32 v[2:3], s[6:7], s14, v24, 0
	v_mad_u64_u32 v[4:5], s[6:7], s12, v55, 0
	v_mov_b32_e32 v0, v3
	s_mul_hi_u32 s14, s12, 0xfffff6d0
	v_mov_b32_e32 v3, v5
	v_mad_u64_u32 v[5:6], s[6:7], s15, v24, v[0:1]
	v_mad_u64_u32 v[6:7], s[6:7], s13, v55, v[3:4]
	v_mov_b32_e32 v3, v5
	v_lshlrev_b64 v[2:3], 2, v[2:3]
	v_mov_b32_e32 v5, v6
	v_mov_b32_e32 v0, s19
	v_lshlrev_b64 v[4:5], 2, v[4:5]
	v_add_co_u32_e32 v2, vcc, s18, v2
	v_addc_co_u32_e32 v0, vcc, v0, v3, vcc
	v_add_co_u32_e32 v2, vcc, v2, v4
	v_addc_co_u32_e32 v3, vcc, v0, v5, vcc
	global_load_dword v4, v[2:3], off
	v_lshlrev_b32_e32 v5, 2, v55
	global_load_dword v57, v5, s[0:1]
	s_mul_i32 s6, s13, 0xab8
	s_mul_hi_u32 s7, s12, 0xab8
	s_add_i32 s6, s7, s6
	s_mul_i32 s7, s12, 0xab8
	v_mov_b32_e32 v0, s6
	v_add_co_u32_e32 v2, vcc, s7, v2
	v_addc_co_u32_e32 v3, vcc, v3, v0, vcc
	global_load_dword v6, v[2:3], off
	global_load_dword v54, v5, s[0:1] offset:2744
	v_and_b32_e32 v0, 1, v1
	v_mov_b32_e32 v1, 0x1570
	v_cmp_eq_u32_e32 vcc, 1, v0
	v_cndmask_b32_e32 v8, 0, v1, vcc
	v_mov_b32_e32 v0, s1
	v_add_co_u32_e32 v62, vcc, s0, v5
	s_mulk_i32 s13, 0xf6d0
	s_mul_i32 s15, s12, 0xfffff6d0
	s_sub_i32 s12, s14, s12
	v_addc_co_u32_e32 v63, vcc, 0, v0, vcc
	s_add_i32 s12, s12, s13
	v_mov_b32_e32 v1, s12
	v_add_co_u32_e32 v0, vcc, s15, v2
	v_addc_co_u32_e32 v1, vcc, v3, v1, vcc
	s_load_dwordx4 s[8:11], s[10:11], 0x0
	global_load_dword v52, v5, s[0:1] offset:3136
	global_load_dword v53, v5, s[0:1] offset:392
	;; [unrolled: 1-line block ×7, first 2 shown]
	global_load_dword v13, v[0:1], off
	v_mov_b32_e32 v7, s6
	v_add_co_u32_e32 v0, vcc, s7, v0
	v_addc_co_u32_e32 v1, vcc, v1, v7, vcc
	v_mov_b32_e32 v11, s12
	v_add_co_u32_e32 v2, vcc, s15, v0
	v_addc_co_u32_e32 v3, vcc, v1, v11, vcc
	global_load_dword v7, v[0:1], off
	global_load_dword v11, v[2:3], off
	v_mov_b32_e32 v9, s6
	v_add_co_u32_e32 v0, vcc, s7, v2
	v_addc_co_u32_e32 v1, vcc, v3, v9, vcc
	global_load_dword v2, v[0:1], off
	global_load_dword v51, v5, s[0:1] offset:3528
	v_mov_b32_e32 v12, s12
	v_add_co_u32_e32 v0, vcc, s15, v0
	v_addc_co_u32_e32 v1, vcc, v1, v12, vcc
	global_load_dword v3, v[0:1], off
	v_mov_b32_e32 v10, s6
	v_add_co_u32_e32 v0, vcc, s7, v0
	v_addc_co_u32_e32 v1, vcc, v1, v10, vcc
	v_add_u32_e32 v59, v8, v5
	v_mov_b32_e32 v14, s6
	v_mov_b32_e32 v15, s12
	;; [unrolled: 1-line block ×4, first 2 shown]
	v_add_u32_e32 v58, 0xc00, v59
	v_add_u32_e32 v56, 0x200, v59
	;; [unrolled: 1-line block ×6, first 2 shown]
	v_lshl_add_u32 v64, v55, 3, v8
	s_movk_i32 s14, 0x370e
	s_mov_b32 s13, 0xb9e0
	s_movk_i32 s18, 0xc4
	s_waitcnt vmcnt(16)
	v_lshrrev_b32_e32 v9, 16, v4
	s_waitcnt vmcnt(15)
	v_mul_f16_sdwa v10, v57, v4 dst_sel:DWORD dst_unused:UNUSED_PAD src0_sel:WORD_1 src1_sel:DWORD
	v_mul_f16_sdwa v12, v57, v9 dst_sel:DWORD dst_unused:UNUSED_PAD src0_sel:WORD_1 src1_sel:DWORD
	v_fma_f16 v9, v57, v9, -v10
	v_fma_f16 v4, v57, v4, v12
	v_pack_b32_f16 v4, v4, v9
	global_load_dword v9, v[0:1], off
	global_load_dword v47, v5, s[0:1] offset:3920
	v_mov_b32_e32 v5, s12
	v_add_co_u32_e32 v0, vcc, s15, v0
	v_addc_co_u32_e32 v1, vcc, v1, v5, vcc
	global_load_dword v5, v[0:1], off
	v_add_co_u32_e32 v0, vcc, s7, v0
	v_addc_co_u32_e32 v1, vcc, v1, v14, vcc
	s_movk_i32 s0, 0x1000
	v_add_co_u32_e32 v29, vcc, s0, v62
	global_load_dword v14, v[0:1], off
	v_addc_co_u32_e32 v30, vcc, 0, v63, vcc
	global_load_dword v45, v[29:30], off offset:216
	v_add_co_u32_e32 v0, vcc, s15, v0
	v_addc_co_u32_e32 v1, vcc, v1, v15, vcc
	global_load_dword v15, v[0:1], off
	v_add_co_u32_e32 v0, vcc, s7, v0
	v_addc_co_u32_e32 v1, vcc, v1, v16, vcc
	global_load_dword v16, v[0:1], off
	global_load_dword v41, v[29:30], off offset:608
	v_add_co_u32_e32 v0, vcc, s15, v0
	v_addc_co_u32_e32 v1, vcc, v1, v17, vcc
	s_waitcnt vmcnt(22)
	v_lshrrev_b32_e32 v10, 16, v6
	global_load_dword v17, v[0:1], off
	s_waitcnt vmcnt(22)
	v_mul_f16_sdwa v12, v54, v10 dst_sel:DWORD dst_unused:UNUSED_PAD src0_sel:WORD_1 src1_sel:DWORD
	v_fma_f16 v12, v54, v6, v12
	v_mul_f16_sdwa v6, v54, v6 dst_sel:DWORD dst_unused:UNUSED_PAD src0_sel:WORD_1 src1_sel:DWORD
	v_fma_f16 v6, v54, v10, -v6
	v_mov_b32_e32 v10, s6
	v_add_co_u32_e32 v0, vcc, s7, v0
	v_addc_co_u32_e32 v1, vcc, v1, v10, vcc
	global_load_dword v10, v[0:1], off
	global_load_dword v39, v[29:30], off offset:1000
	v_pack_b32_f16 v0, v12, v6
	ds_write_b32 v59, v0 offset:2744
	s_waitcnt vmcnt(16)
	v_lshrrev_b32_e32 v0, 16, v13
	v_mul_f16_sdwa v1, v53, v0 dst_sel:DWORD dst_unused:UNUSED_PAD src0_sel:WORD_1 src1_sel:DWORD
	v_mul_f16_sdwa v6, v53, v13 dst_sel:DWORD dst_unused:UNUSED_PAD src0_sel:WORD_1 src1_sel:DWORD
	v_fma_f16 v1, v53, v13, v1
	v_fma_f16 v0, v53, v0, -v6
	v_pack_b32_f16 v0, v1, v0
	ds_write2_b32 v59, v4, v0 offset1:98
	s_waitcnt vmcnt(15)
	v_lshrrev_b32_e32 v0, 16, v7
	v_mul_f16_sdwa v1, v52, v0 dst_sel:DWORD dst_unused:UNUSED_PAD src0_sel:WORD_1 src1_sel:DWORD
	v_mul_f16_sdwa v4, v52, v7 dst_sel:DWORD dst_unused:UNUSED_PAD src0_sel:WORD_1 src1_sel:DWORD
	v_fma_f16 v1, v52, v7, v1
	v_fma_f16 v0, v52, v0, -v4
	v_pack_b32_f16 v0, v1, v0
	s_waitcnt vmcnt(14)
	v_lshrrev_b32_e32 v1, 16, v11
	v_mul_f16_sdwa v4, v50, v1 dst_sel:DWORD dst_unused:UNUSED_PAD src0_sel:WORD_1 src1_sel:DWORD
	v_mul_f16_sdwa v6, v50, v11 dst_sel:DWORD dst_unused:UNUSED_PAD src0_sel:WORD_1 src1_sel:DWORD
	v_fma_f16 v4, v50, v11, v4
	v_fma_f16 v1, v50, v1, -v6
	v_pack_b32_f16 v1, v4, v1
	s_waitcnt vmcnt(13)
	v_lshrrev_b32_e32 v4, 16, v2
	s_waitcnt vmcnt(12)
	v_mul_f16_sdwa v6, v51, v4 dst_sel:DWORD dst_unused:UNUSED_PAD src0_sel:WORD_1 src1_sel:DWORD
	v_fma_f16 v6, v51, v2, v6
	v_mul_f16_sdwa v2, v51, v2 dst_sel:DWORD dst_unused:UNUSED_PAD src0_sel:WORD_1 src1_sel:DWORD
	v_fma_f16 v2, v51, v4, -v2
	v_pack_b32_f16 v2, v6, v2
	ds_write2_b32 v58, v0, v2 offset0:16 offset1:114
	s_waitcnt vmcnt(11)
	v_lshrrev_b32_e32 v0, 16, v3
	v_mul_f16_sdwa v2, v46, v0 dst_sel:DWORD dst_unused:UNUSED_PAD src0_sel:WORD_1 src1_sel:DWORD
	v_fma_f16 v2, v46, v3, v2
	v_mul_f16_sdwa v3, v46, v3 dst_sel:DWORD dst_unused:UNUSED_PAD src0_sel:WORD_1 src1_sel:DWORD
	v_fma_f16 v0, v46, v0, -v3
	v_pack_b32_f16 v0, v2, v0
	ds_write2_b32 v56, v1, v0 offset0:68 offset1:166
	s_waitcnt vmcnt(10)
	v_lshrrev_b32_e32 v0, 16, v9
	s_waitcnt vmcnt(9)
	v_mul_f16_sdwa v1, v47, v0 dst_sel:DWORD dst_unused:UNUSED_PAD src0_sel:WORD_1 src1_sel:DWORD
	v_mul_f16_sdwa v2, v47, v9 dst_sel:DWORD dst_unused:UNUSED_PAD src0_sel:WORD_1 src1_sel:DWORD
	v_fma_f16 v1, v47, v9, v1
	v_fma_f16 v0, v47, v0, -v2
	v_pack_b32_f16 v0, v1, v0
	s_movk_i32 s0, 0x62
	s_waitcnt vmcnt(8)
	v_lshrrev_b32_e32 v1, 16, v5
	v_mul_f16_sdwa v2, v44, v1 dst_sel:DWORD dst_unused:UNUSED_PAD src0_sel:WORD_1 src1_sel:DWORD
	v_mul_f16_sdwa v3, v44, v5 dst_sel:DWORD dst_unused:UNUSED_PAD src0_sel:WORD_1 src1_sel:DWORD
	v_fma_f16 v2, v44, v5, v2
	v_fma_f16 v1, v44, v1, -v3
	v_pack_b32_f16 v1, v2, v1
	s_movk_i32 s12, 0x39e0
	s_movk_i32 s15, 0x3b00
	s_waitcnt vmcnt(7)
	v_lshrrev_b32_e32 v2, 16, v14
	s_waitcnt vmcnt(6)
	v_mul_f16_sdwa v3, v45, v2 dst_sel:DWORD dst_unused:UNUSED_PAD src0_sel:WORD_1 src1_sel:DWORD
	v_mul_f16_sdwa v4, v45, v14 dst_sel:DWORD dst_unused:UNUSED_PAD src0_sel:WORD_1 src1_sel:DWORD
	v_fma_f16 v3, v45, v14, v3
	v_fma_f16 v2, v45, v2, -v4
	v_pack_b32_f16 v2, v3, v2
	ds_write2_b32 v49, v0, v2 offset0:84 offset1:182
	s_waitcnt vmcnt(5)
	v_lshrrev_b32_e32 v0, 16, v15
	v_mul_f16_sdwa v2, v42, v0 dst_sel:DWORD dst_unused:UNUSED_PAD src0_sel:WORD_1 src1_sel:DWORD
	v_mul_f16_sdwa v3, v42, v15 dst_sel:DWORD dst_unused:UNUSED_PAD src0_sel:WORD_1 src1_sel:DWORD
	v_fma_f16 v2, v42, v15, v2
	v_fma_f16 v0, v42, v0, -v3
	v_pack_b32_f16 v0, v2, v0
	ds_write2_b32 v48, v1, v0 offset0:136 offset1:234
	s_waitcnt vmcnt(4)
	v_lshrrev_b32_e32 v0, 16, v16
	s_waitcnt vmcnt(3)
	v_mul_f16_sdwa v1, v41, v0 dst_sel:DWORD dst_unused:UNUSED_PAD src0_sel:WORD_1 src1_sel:DWORD
	v_mul_f16_sdwa v2, v41, v16 dst_sel:DWORD dst_unused:UNUSED_PAD src0_sel:WORD_1 src1_sel:DWORD
	v_fma_f16 v1, v41, v16, v1
	v_fma_f16 v0, v41, v0, -v2
	v_pack_b32_f16 v0, v1, v0
	s_waitcnt vmcnt(2)
	v_lshrrev_b32_e32 v1, 16, v17
	v_mul_f16_sdwa v2, v40, v1 dst_sel:DWORD dst_unused:UNUSED_PAD src0_sel:WORD_1 src1_sel:DWORD
	v_mul_f16_sdwa v3, v40, v17 dst_sel:DWORD dst_unused:UNUSED_PAD src0_sel:WORD_1 src1_sel:DWORD
	v_fma_f16 v2, v40, v17, v2
	v_fma_f16 v1, v40, v1, -v3
	v_pack_b32_f16 v1, v2, v1
	ds_write_b32 v59, v1 offset:2352
	s_waitcnt vmcnt(1)
	v_lshrrev_b32_e32 v1, 16, v10
	s_waitcnt vmcnt(0)
	v_mul_f16_sdwa v2, v39, v1 dst_sel:DWORD dst_unused:UNUSED_PAD src0_sel:WORD_1 src1_sel:DWORD
	v_mul_f16_sdwa v3, v39, v10 dst_sel:DWORD dst_unused:UNUSED_PAD src0_sel:WORD_1 src1_sel:DWORD
	v_fma_f16 v2, v39, v10, v2
	v_fma_f16 v1, v39, v1, -v3
	v_pack_b32_f16 v1, v2, v1
	ds_write2_b32 v43, v0, v1 offset0:152 offset1:250
	s_waitcnt lgkmcnt(0)
	s_barrier
	ds_read2_b32 v[0:1], v59 offset1:98
	ds_read2_b32 v[2:3], v60 offset0:76 offset1:174
	ds_read2_b32 v[4:5], v58 offset0:16 offset1:114
	;; [unrolled: 1-line block ×6, first 2 shown]
	s_waitcnt lgkmcnt(4)
	v_pk_add_f16 v4, v1, v4 neg_lo:[0,1] neg_hi:[0,1]
	v_pk_add_f16 v7, v0, v3 neg_lo:[0,1] neg_hi:[0,1]
	s_waitcnt lgkmcnt(2)
	v_pk_add_f16 v18, v13, v12 neg_lo:[0,1] neg_hi:[0,1]
	v_pk_fma_f16 v3, v1, 2.0, v4 op_sel_hi:[1,0,1] neg_lo:[0,0,1] neg_hi:[0,0,1]
	s_waitcnt lgkmcnt(1)
	v_pk_add_f16 v1, v9, v5 neg_lo:[0,1] neg_hi:[0,1]
	v_pk_fma_f16 v17, v13, 2.0, v18 op_sel_hi:[1,0,1] neg_lo:[0,0,1] neg_hi:[0,0,1]
	s_waitcnt lgkmcnt(0)
	v_pk_add_f16 v13, v14, v15 neg_lo:[0,1] neg_hi:[0,1]
	v_pk_add_f16 v15, v2, v16 neg_lo:[0,1] neg_hi:[0,1]
	v_lshlrev_b32_e32 v16, 1, v55
	v_pk_fma_f16 v6, v0, 2.0, v7 op_sel_hi:[1,0,1] neg_lo:[0,0,1] neg_hi:[0,0,1]
	v_pk_fma_f16 v0, v9, 2.0, v1 op_sel_hi:[1,0,1] neg_lo:[0,0,1] neg_hi:[0,0,1]
	v_pk_add_f16 v11, v10, v11 neg_lo:[0,1] neg_hi:[0,1]
	v_add_co_u32_e32 v9, vcc, s0, v55
	v_add_u32_e32 v19, 0x188, v16
	v_add_u32_e32 v20, 0x24c, v16
	v_add_u32_e32 v21, 0x310, v16
	v_pk_fma_f16 v10, v10, 2.0, v11 op_sel_hi:[1,0,1] neg_lo:[0,0,1] neg_hi:[0,0,1]
	v_lshl_add_u32 v65, v9, 3, v8
	v_lshl_add_u32 v66, v19, 2, v8
	;; [unrolled: 1-line block ×4, first 2 shown]
	s_barrier
	ds_write_b64 v64, v[6:7]
	ds_write_b64 v65, v[3:4]
	;; [unrolled: 1-line block ×5, first 2 shown]
	v_add_u32_e32 v17, 0x3d4, v16
	v_add_u32_e32 v18, 0x498, v16
	v_pk_fma_f16 v12, v14, 2.0, v13 op_sel_hi:[1,0,1] neg_lo:[0,0,1] neg_hi:[0,0,1]
	v_pk_fma_f16 v14, v2, 2.0, v15 op_sel_hi:[1,0,1] neg_lo:[0,0,1] neg_hi:[0,0,1]
	v_lshl_add_u32 v69, v17, 2, v8
	v_lshl_add_u32 v70, v18, 2, v8
	ds_write_b64 v69, v[12:13]
	ds_write_b64 v70, v[14:15]
	v_and_b32_e32 v14, 1, v55
	v_lshlrev_b32_e32 v0, 2, v14
	s_waitcnt lgkmcnt(0)
	s_barrier
	global_load_dword v61, v0, s[2:3]
	ds_read2_b32 v[0:1], v60 offset0:76 offset1:174
	ds_read2_b32 v[2:3], v59 offset1:98
	s_movk_i32 s0, 0xfc
	v_and_or_b32 v16, v16, s0, v14
	v_lshl_add_u32 v71, v16, 2, v8
	s_waitcnt lgkmcnt(1)
	v_lshrrev_b32_e32 v4, 16, v1
	s_movk_i32 s0, 0x1fc
	v_and_b32_e32 v80, 3, v9
	v_mad_u64_u32 v[27:28], s[6:7], v80, 24, s[2:3]
	s_movk_i32 s6, 0x2b26
	s_mov_b32 s7, 0xb574
	s_waitcnt vmcnt(0)
	v_mul_f16_sdwa v5, v1, v61 dst_sel:DWORD dst_unused:UNUSED_PAD src0_sel:DWORD src1_sel:WORD_1
	v_fma_f16 v5, v4, v61, v5
	v_mul_f16_sdwa v4, v4, v61 dst_sel:DWORD dst_unused:UNUSED_PAD src0_sel:DWORD src1_sel:WORD_1
	v_fma_f16 v1, v1, v61, -v4
	s_waitcnt lgkmcnt(0)
	v_lshrrev_b32_e32 v4, 16, v2
	v_sub_f16_e32 v1, v2, v1
	v_sub_f16_e32 v5, v4, v5
	v_fma_f16 v4, v4, 2.0, -v5
	v_fma_f16 v2, v2, 2.0, -v1
	v_pack_b32_f16 v15, v2, v4
	v_pack_b32_f16 v22, v1, v5
	ds_read2_b32 v[1:2], v58 offset0:16 offset1:114
	ds_read2_b32 v[4:5], v56 offset0:68 offset1:166
	;; [unrolled: 1-line block ×5, first 2 shown]
	s_waitcnt lgkmcnt(0)
	s_barrier
	ds_write2_b32 v71, v15, v22 offset1:2
	v_lshrrev_b32_e32 v15, 16, v1
	v_mul_f16_sdwa v16, v1, v61 dst_sel:DWORD dst_unused:UNUSED_PAD src0_sel:DWORD src1_sel:WORD_1
	v_fma_f16 v16, v15, v61, v16
	v_mul_f16_sdwa v15, v15, v61 dst_sel:DWORD dst_unused:UNUSED_PAD src0_sel:DWORD src1_sel:WORD_1
	v_fma_f16 v1, v1, v61, -v15
	v_lshrrev_b32_e32 v15, 16, v3
	v_sub_f16_e32 v1, v3, v1
	v_sub_f16_e32 v16, v15, v16
	v_fma_f16 v3, v3, 2.0, -v1
	v_fma_f16 v15, v15, 2.0, -v16
	v_pack_b32_f16 v3, v3, v15
	v_lshlrev_b32_e32 v15, 1, v9
	v_and_or_b32 v15, v15, s0, v14
	v_pack_b32_f16 v1, v1, v16
	v_lshl_add_u32 v72, v15, 2, v8
	ds_write2_b32 v72, v3, v1 offset1:2
	v_lshrrev_b32_e32 v1, 16, v2
	v_mul_f16_sdwa v3, v1, v61 dst_sel:DWORD dst_unused:UNUSED_PAD src0_sel:DWORD src1_sel:WORD_1
	v_fma_f16 v3, v2, v61, -v3
	v_mul_f16_sdwa v2, v2, v61 dst_sel:DWORD dst_unused:UNUSED_PAD src0_sel:DWORD src1_sel:WORD_1
	v_fma_f16 v1, v1, v61, v2
	v_sub_f16_e32 v2, v4, v3
	v_lshrrev_b32_e32 v3, 16, v4
	v_sub_f16_e32 v1, v3, v1
	s_movk_i32 s0, 0x3fc
	v_fma_f16 v3, v3, 2.0, -v1
	v_fma_f16 v4, v4, 2.0, -v2
	v_pack_b32_f16 v1, v2, v1
	v_and_or_b32 v2, v19, s0, v14
	v_pack_b32_f16 v3, v4, v3
	v_lshl_add_u32 v73, v2, 2, v8
	ds_write2_b32 v73, v3, v1 offset1:2
	v_lshrrev_b32_e32 v1, 16, v6
	v_mul_f16_sdwa v2, v6, v61 dst_sel:DWORD dst_unused:UNUSED_PAD src0_sel:DWORD src1_sel:WORD_1
	v_fma_f16 v2, v1, v61, v2
	v_mul_f16_sdwa v1, v1, v61 dst_sel:DWORD dst_unused:UNUSED_PAD src0_sel:DWORD src1_sel:WORD_1
	v_fma_f16 v1, v6, v61, -v1
	v_lshrrev_b32_e32 v3, 16, v5
	v_sub_f16_e32 v1, v5, v1
	v_sub_f16_e32 v2, v3, v2
	v_fma_f16 v4, v5, 2.0, -v1
	v_fma_f16 v3, v3, 2.0, -v2
	v_pack_b32_f16 v1, v1, v2
	v_and_or_b32 v2, v20, s0, v14
	v_pack_b32_f16 v3, v4, v3
	v_lshl_add_u32 v74, v2, 2, v8
	ds_write2_b32 v74, v3, v1 offset1:2
	v_lshrrev_b32_e32 v1, 16, v7
	v_mul_f16_sdwa v2, v1, v61 dst_sel:DWORD dst_unused:UNUSED_PAD src0_sel:DWORD src1_sel:WORD_1
	v_mul_f16_sdwa v3, v7, v61 dst_sel:DWORD dst_unused:UNUSED_PAD src0_sel:DWORD src1_sel:WORD_1
	v_fma_f16 v2, v7, v61, -v2
	v_fma_f16 v1, v1, v61, v3
	v_lshrrev_b32_e32 v3, 16, v10
	v_sub_f16_e32 v2, v10, v2
	v_sub_f16_e32 v1, v3, v1
	s_movk_i32 s0, 0x7fc
	v_fma_f16 v3, v3, 2.0, -v1
	v_fma_f16 v4, v10, 2.0, -v2
	v_pack_b32_f16 v1, v2, v1
	v_and_or_b32 v2, v21, s0, v14
	v_pack_b32_f16 v3, v4, v3
	v_lshl_add_u32 v75, v2, 2, v8
	ds_write2_b32 v75, v3, v1 offset1:2
	v_lshrrev_b32_e32 v1, 16, v12
	v_mul_f16_sdwa v2, v12, v61 dst_sel:DWORD dst_unused:UNUSED_PAD src0_sel:DWORD src1_sel:WORD_1
	v_fma_f16 v2, v1, v61, v2
	v_mul_f16_sdwa v1, v1, v61 dst_sel:DWORD dst_unused:UNUSED_PAD src0_sel:DWORD src1_sel:WORD_1
	v_fma_f16 v1, v12, v61, -v1
	v_lshrrev_b32_e32 v3, 16, v11
	v_sub_f16_e32 v1, v11, v1
	v_sub_f16_e32 v2, v3, v2
	v_fma_f16 v4, v11, 2.0, -v1
	v_fma_f16 v3, v3, 2.0, -v2
	v_pack_b32_f16 v1, v1, v2
	v_and_or_b32 v2, v17, s0, v14
	v_pack_b32_f16 v3, v4, v3
	v_lshl_add_u32 v76, v2, 2, v8
	ds_write2_b32 v76, v3, v1 offset1:2
	v_lshrrev_b32_e32 v1, 16, v13
	s_movk_i32 s0, 0x5fc
	v_mul_f16_sdwa v2, v1, v61 dst_sel:DWORD dst_unused:UNUSED_PAD src0_sel:DWORD src1_sel:WORD_1
	v_mul_f16_sdwa v3, v13, v61 dst_sel:DWORD dst_unused:UNUSED_PAD src0_sel:DWORD src1_sel:WORD_1
	v_and_or_b32 v4, v18, s0, v14
	v_and_b32_e32 v16, 3, v55
	v_fma_f16 v2, v13, v61, -v2
	v_fma_f16 v1, v1, v61, v3
	v_lshrrev_b32_e32 v3, 16, v0
	v_lshl_add_u32 v77, v4, 2, v8
	v_mad_u64_u32 v[4:5], s[0:1], v16, 24, s[2:3]
	v_sub_f16_e32 v2, v0, v2
	v_sub_f16_e32 v1, v3, v1
	v_fma_f16 v0, v0, 2.0, -v2
	v_fma_f16 v3, v3, 2.0, -v1
	v_pack_b32_f16 v0, v0, v3
	v_pack_b32_f16 v1, v2, v1
	ds_write2_b32 v77, v0, v1 offset1:2
	s_waitcnt lgkmcnt(0)
	s_barrier
	global_load_dwordx4 v[0:3], v[4:5], off offset:8
	global_load_dwordx2 v[25:26], v[4:5], off offset:24
	ds_read2_b32 v[4:5], v56 offset0:68 offset1:166
	ds_read2_b32 v[6:7], v43 offset0:152 offset1:250
	;; [unrolled: 1-line block ×3, first 2 shown]
	s_mov_b32 s0, 0xbcab
	s_movk_i32 s1, 0x3574
	s_waitcnt lgkmcnt(2)
	v_lshrrev_b32_e32 v10, 16, v4
	s_waitcnt vmcnt(1)
	v_mul_f16_sdwa v11, v4, v0 dst_sel:DWORD dst_unused:UNUSED_PAD src0_sel:DWORD src1_sel:WORD_1
	v_fma_f16 v12, v10, v0, v11
	v_mul_f16_sdwa v10, v10, v0 dst_sel:DWORD dst_unused:UNUSED_PAD src0_sel:DWORD src1_sel:WORD_1
	v_fma_f16 v4, v4, v0, -v10
	s_waitcnt lgkmcnt(1)
	v_lshrrev_b32_e32 v10, 16, v6
	s_waitcnt vmcnt(0)
	v_mul_f16_sdwa v11, v6, v26 dst_sel:DWORD dst_unused:UNUSED_PAD src0_sel:DWORD src1_sel:WORD_1
	v_fma_f16 v13, v10, v26, v11
	v_mul_f16_sdwa v10, v10, v26 dst_sel:DWORD dst_unused:UNUSED_PAD src0_sel:DWORD src1_sel:WORD_1
	v_fma_f16 v6, v6, v26, -v10
	ds_read2_b32 v[10:11], v48 offset0:136 offset1:234
	v_add_f16_e32 v23, v4, v6
	v_sub_f16_e32 v4, v4, v6
	v_add_f16_e32 v6, v12, v13
	v_sub_f16_e32 v33, v12, v13
	ds_read2_b32 v[12:13], v49 offset0:84 offset1:182
	s_waitcnt lgkmcnt(1)
	v_lshrrev_b32_e32 v14, 16, v10
	v_mul_f16_sdwa v15, v10, v1 dst_sel:DWORD dst_unused:UNUSED_PAD src0_sel:DWORD src1_sel:WORD_1
	v_fma_f16 v17, v14, v1, v15
	v_mul_f16_sdwa v14, v14, v1 dst_sel:DWORD dst_unused:UNUSED_PAD src0_sel:DWORD src1_sel:WORD_1
	v_fma_f16 v10, v10, v1, -v14
	s_waitcnt lgkmcnt(0)
	v_lshrrev_b32_e32 v14, 16, v12
	v_mul_f16_sdwa v15, v12, v25 dst_sel:DWORD dst_unused:UNUSED_PAD src0_sel:DWORD src1_sel:WORD_1
	v_fma_f16 v18, v14, v25, v15
	v_mul_f16_sdwa v14, v14, v25 dst_sel:DWORD dst_unused:UNUSED_PAD src0_sel:DWORD src1_sel:WORD_1
	v_fma_f16 v12, v12, v25, -v14
	ds_read2_b32 v[14:15], v60 offset0:76 offset1:174
	v_add_f16_e32 v34, v10, v12
	v_sub_f16_e32 v10, v10, v12
	v_add_f16_e32 v12, v17, v18
	v_sub_f16_e32 v35, v17, v18
	s_waitcnt lgkmcnt(0)
	v_lshrrev_b32_e32 v17, 16, v14
	v_mul_f16_sdwa v18, v14, v2 dst_sel:DWORD dst_unused:UNUSED_PAD src0_sel:DWORD src1_sel:WORD_1
	v_fma_f16 v18, v17, v2, v18
	v_mul_f16_sdwa v17, v17, v2 dst_sel:DWORD dst_unused:UNUSED_PAD src0_sel:DWORD src1_sel:WORD_1
	v_fma_f16 v14, v14, v2, -v17
	v_lshrrev_b32_e32 v17, 16, v19
	v_mul_f16_sdwa v21, v19, v3 dst_sel:DWORD dst_unused:UNUSED_PAD src0_sel:DWORD src1_sel:WORD_1
	v_fma_f16 v21, v17, v3, v21
	v_mul_f16_sdwa v17, v17, v3 dst_sel:DWORD dst_unused:UNUSED_PAD src0_sel:DWORD src1_sel:WORD_1
	v_fma_f16 v17, v19, v3, -v17
	v_add_f16_e32 v37, v18, v21
	v_sub_f16_e32 v38, v21, v18
	ds_read2_b32 v[21:22], v59 offset1:98
	v_add_f16_e32 v36, v14, v17
	v_sub_f16_e32 v14, v17, v14
	v_lshrrev_b32_e32 v17, 2, v55
	v_mul_u32_u24_e32 v17, 28, v17
	v_or_b32_e32 v78, v17, v16
	v_add_f16_e32 v16, v34, v23
	v_add_f16_e32 v17, v12, v6
	;; [unrolled: 1-line block ×4, first 2 shown]
	s_waitcnt lgkmcnt(0)
	v_add_f16_e32 v79, v21, v16
	v_add_f16_sdwa v21, v21, v17 dst_sel:DWORD dst_unused:UNUSED_PAD src0_sel:WORD_1 src1_sel:DWORD
	v_fma_f16 v81, v16, s0, v79
	v_fma_f16 v82, v17, s0, v21
	global_load_dwordx2 v[31:32], v[27:28], off offset:24
	global_load_dwordx4 v[16:19], v[27:28], off offset:8
	v_sub_f16_e32 v27, v23, v36
	v_sub_f16_e32 v28, v36, v34
	;; [unrolled: 1-line block ×5, first 2 shown]
	v_pack_b32_f16 v21, v79, v21
	v_sub_f16_e32 v37, v37, v12
	v_add_f16_e32 v79, v14, v10
	v_sub_f16_e32 v14, v4, v14
	v_add_f16_e32 v84, v38, v35
	v_sub_f16_e32 v38, v33, v38
	v_mul_f16_e32 v27, 0x3a52, v27
	v_mul_f16_e32 v36, 0x3a52, v36
	;; [unrolled: 1-line block ×4, first 2 shown]
	v_add_f16_e32 v79, v79, v4
	v_add_f16_e32 v84, v84, v33
	v_fma_f16 v86, v28, s6, v27
	v_fma_f16 v87, v37, s6, v36
	;; [unrolled: 1-line block ×4, first 2 shown]
	v_add_f16_e32 v86, v86, v81
	v_add_f16_e32 v87, v87, v82
	v_fma_f16 v88, v79, s14, v88
	v_fma_f16 v89, v84, s14, v89
	v_add_f16_e32 v90, v89, v86
	v_sub_f16_e32 v91, v87, v88
	v_pack_b32_f16 v90, v90, v91
	v_lshl_add_u32 v78, v78, 2, v8
	s_waitcnt vmcnt(0)
	s_barrier
	ds_write2_b32 v78, v21, v90 offset1:4
	v_sub_f16_e32 v21, v34, v23
	v_sub_f16_e32 v6, v12, v6
	v_sub_f16_e32 v4, v10, v4
	v_mul_f16_e32 v12, 0x2b26, v28
	v_sub_f16_e32 v10, v35, v33
	v_fma_f16 v12, v21, s12, -v12
	v_fma_f16 v21, v21, s13, -v27
	;; [unrolled: 1-line block ×3, first 2 shown]
	v_mul_f16_e32 v4, 0xbb00, v4
	v_mul_f16_e32 v23, 0x2b26, v37
	v_fma_f16 v4, v14, s7, v4
	v_fma_f16 v14, v10, s15, -v85
	v_mul_f16_e32 v10, 0xbb00, v10
	v_fma_f16 v23, v6, s12, -v23
	v_fma_f16 v6, v6, s13, -v36
	v_fma_f16 v10, v38, s7, v10
	v_add_f16_e32 v21, v21, v81
	v_add_f16_e32 v6, v6, v82
	v_fma_f16 v4, v79, s14, v4
	v_fma_f16 v10, v84, s14, v10
	v_add_f16_e32 v12, v12, v81
	v_add_f16_e32 v23, v23, v82
	v_fma_f16 v27, v79, s14, v27
	v_fma_f16 v14, v84, s14, v14
	v_add_f16_e32 v28, v10, v21
	v_sub_f16_e32 v33, v6, v4
	v_pack_b32_f16 v28, v28, v33
	v_sub_f16_e32 v33, v12, v14
	v_add_f16_e32 v12, v14, v12
	v_sub_f16_e32 v14, v23, v27
	v_sub_f16_e32 v10, v21, v10
	v_add_f16_e32 v4, v4, v6
	v_pack_b32_f16 v6, v12, v14
	v_pack_b32_f16 v4, v10, v4
	ds_write2_b32 v78, v6, v4 offset0:16 offset1:20
	v_lshrrev_b32_e32 v4, 16, v5
	v_add_f16_e32 v34, v27, v23
	v_pack_b32_f16 v33, v33, v34
	ds_write2_b32 v78, v28, v33 offset0:8 offset1:12
	v_add_f16_e32 v27, v88, v87
	v_mul_f16_sdwa v6, v4, v16 dst_sel:DWORD dst_unused:UNUSED_PAD src0_sel:DWORD src1_sel:WORD_1
	v_fma_f16 v6, v5, v16, -v6
	v_mul_f16_sdwa v5, v5, v16 dst_sel:DWORD dst_unused:UNUSED_PAD src0_sel:DWORD src1_sel:WORD_1
	v_fma_f16 v4, v4, v16, v5
	v_lshrrev_b32_e32 v5, 16, v11
	v_mul_f16_sdwa v10, v5, v17 dst_sel:DWORD dst_unused:UNUSED_PAD src0_sel:DWORD src1_sel:WORD_1
	v_fma_f16 v10, v11, v17, -v10
	v_mul_f16_sdwa v11, v11, v17 dst_sel:DWORD dst_unused:UNUSED_PAD src0_sel:DWORD src1_sel:WORD_1
	v_fma_f16 v5, v5, v17, v11
	v_lshrrev_b32_e32 v11, 16, v15
	v_mul_f16_sdwa v14, v15, v18 dst_sel:DWORD dst_unused:UNUSED_PAD src0_sel:DWORD src1_sel:WORD_1
	v_mul_f16_sdwa v12, v11, v18 dst_sel:DWORD dst_unused:UNUSED_PAD src0_sel:DWORD src1_sel:WORD_1
	v_fma_f16 v11, v11, v18, v14
	v_lshrrev_b32_e32 v14, 16, v20
	v_fma_f16 v12, v15, v18, -v12
	v_mul_f16_sdwa v15, v14, v19 dst_sel:DWORD dst_unused:UNUSED_PAD src0_sel:DWORD src1_sel:WORD_1
	v_fma_f16 v15, v20, v19, -v15
	v_mul_f16_sdwa v20, v20, v19 dst_sel:DWORD dst_unused:UNUSED_PAD src0_sel:DWORD src1_sel:WORD_1
	v_fma_f16 v14, v14, v19, v20
	v_lshrrev_b32_e32 v20, 16, v13
	v_mul_f16_sdwa v21, v20, v31 dst_sel:DWORD dst_unused:UNUSED_PAD src0_sel:DWORD src1_sel:WORD_1
	v_fma_f16 v21, v13, v31, -v21
	v_mul_f16_sdwa v13, v13, v31 dst_sel:DWORD dst_unused:UNUSED_PAD src0_sel:DWORD src1_sel:WORD_1
	v_fma_f16 v13, v20, v31, v13
	v_lshrrev_b32_e32 v20, 16, v7
	v_mul_f16_sdwa v23, v20, v32 dst_sel:DWORD dst_unused:UNUSED_PAD src0_sel:DWORD src1_sel:WORD_1
	v_fma_f16 v23, v7, v32, -v23
	v_mul_f16_sdwa v7, v7, v32 dst_sel:DWORD dst_unused:UNUSED_PAD src0_sel:DWORD src1_sel:WORD_1
	v_fma_f16 v7, v20, v32, v7
	v_add_f16_e32 v28, v6, v23
	v_sub_f16_e32 v6, v6, v23
	v_add_f16_e32 v23, v4, v7
	v_sub_f16_e32 v4, v4, v7
	;; [unrolled: 2-line block ×6, first 2 shown]
	v_add_f16_e32 v14, v7, v28
	v_add_f16_e32 v33, v21, v23
	;; [unrolled: 1-line block ×4, first 2 shown]
	v_sub_f16_e32 v20, v86, v89
	v_add_f16_e32 v34, v22, v14
	v_add_f16_sdwa v22, v22, v33 dst_sel:DWORD dst_unused:UNUSED_PAD src0_sel:WORD_1 src1_sel:DWORD
	v_pack_b32_f16 v20, v20, v27
	v_fma_f16 v27, v33, s0, v22
	v_sub_f16_e32 v33, v28, v13
	ds_write_b32 v78, v20 offset:96
	v_lshrrev_b32_e32 v20, 2, v9
	v_fma_f16 v14, v14, s0, v34
	v_pack_b32_f16 v22, v34, v22
	v_sub_f16_e32 v13, v13, v7
	v_sub_f16_e32 v34, v23, v15
	v_mul_f16_e32 v33, 0x3a52, v33
	v_mul_u32_u24_e32 v20, 28, v20
	v_sub_f16_e32 v15, v15, v21
	v_sub_f16_e32 v36, v12, v10
	v_mul_f16_e32 v34, 0x3a52, v34
	v_fma_f16 v79, v13, s6, v33
	v_or_b32_e32 v20, v20, v80
	v_add_f16_e32 v35, v12, v10
	v_sub_f16_e32 v12, v6, v12
	v_sub_f16_e32 v38, v11, v5
	v_mul_f16_e32 v36, 0xb846, v36
	v_add_f16_e32 v80, v79, v14
	v_fma_f16 v79, v15, s6, v34
	v_add_f16_e32 v37, v11, v5
	v_sub_f16_e32 v11, v4, v11
	v_add_f16_e32 v35, v35, v6
	v_mul_f16_e32 v38, 0xb846, v38
	v_add_f16_e32 v81, v79, v27
	v_fma_f16 v79, v12, s1, v36
	v_add_f16_e32 v37, v37, v4
	v_fma_f16 v82, v35, s14, v79
	v_fma_f16 v79, v11, s1, v38
	;; [unrolled: 1-line block ×3, first 2 shown]
	v_sub_f16_e32 v6, v10, v6
	v_add_f16_e32 v79, v83, v80
	v_sub_f16_e32 v84, v81, v82
	v_sub_f16_e32 v4, v5, v4
	v_mul_f16_e32 v10, 0x2b26, v15
	v_fma_f16 v15, v6, s15, -v36
	v_mul_f16_e32 v6, 0xbb00, v6
	v_pack_b32_f16 v84, v79, v84
	v_lshl_add_u32 v79, v20, 2, v8
	v_sub_f16_e32 v7, v7, v28
	v_sub_f16_e32 v20, v21, v23
	v_mul_f16_e32 v5, 0x2b26, v13
	v_fma_f16 v6, v12, s7, v6
	v_fma_f16 v12, v4, s15, -v38
	v_mul_f16_e32 v4, 0xbb00, v4
	v_fma_f16 v5, v7, s12, -v5
	v_fma_f16 v7, v7, s13, -v33
	;; [unrolled: 1-line block ×3, first 2 shown]
	v_fma_f16 v4, v11, s7, v4
	v_fma_f16 v10, v20, s12, -v10
	v_add_f16_e32 v7, v7, v14
	v_add_f16_e32 v11, v13, v27
	v_fma_f16 v6, v35, s14, v6
	v_fma_f16 v4, v37, s14, v4
	v_add_f16_e32 v5, v5, v14
	v_add_f16_e32 v10, v10, v27
	v_fma_f16 v13, v35, s14, v15
	v_fma_f16 v12, v37, s14, v12
	v_add_f16_e32 v14, v4, v7
	v_sub_f16_e32 v15, v11, v6
	v_pack_b32_f16 v14, v14, v15
	v_sub_f16_e32 v15, v5, v12
	v_add_f16_e32 v20, v13, v10
	v_add_f16_e32 v5, v12, v5
	v_sub_f16_e32 v10, v10, v13
	v_sub_f16_e32 v4, v7, v4
	v_add_f16_e32 v6, v6, v11
	v_pack_b32_f16 v5, v5, v10
	v_pack_b32_f16 v4, v4, v6
	ds_write2_b32 v79, v5, v4 offset0:16 offset1:20
	v_sub_f16_e32 v4, v80, v83
	v_add_f16_e32 v5, v82, v81
	v_pack_b32_f16 v4, v4, v5
	ds_write_b32 v79, v4 offset:96
	v_lshrrev_b16_e32 v4, 2, v55
	v_and_b32_e32 v4, 63, v4
	v_pack_b32_f16 v15, v15, v20
	v_mov_b32_e32 v12, 28
	v_mul_lo_u16_e32 v20, 37, v4
	v_mul_lo_u16_sdwa v4, v20, v12 dst_sel:DWORD dst_unused:UNUSED_PAD src0_sel:BYTE_1 src1_sel:DWORD
	v_sub_u16_e32 v4, v55, v4
	v_and_b32_e32 v21, 0xff, v4
	v_mad_u64_u32 v[10:11], s[16:17], v21, 24, s[2:3]
	ds_write2_b32 v79, v22, v84 offset1:4
	ds_write2_b32 v79, v14, v15 offset0:8 offset1:12
	s_waitcnt lgkmcnt(0)
	s_barrier
	global_load_dwordx4 v[4:7], v[10:11], off offset:104
	global_load_dwordx2 v[27:28], v[10:11], off offset:120
	v_lshrrev_b16_e32 v13, 2, v9
	v_and_b32_e32 v13, 63, v13
	ds_read2_b32 v[10:11], v56 offset0:68 offset1:166
	v_mul_lo_u16_e32 v84, 37, v13
	v_mul_lo_u16_sdwa v12, v84, v12 dst_sel:DWORD dst_unused:UNUSED_PAD src0_sel:BYTE_1 src1_sel:DWORD
	v_sub_u16_e32 v22, v9, v12
	ds_read2_b32 v[12:13], v43 offset0:152 offset1:250
	s_waitcnt lgkmcnt(1)
	v_lshrrev_b32_e32 v9, 16, v10
	v_and_b32_e32 v92, 0xff, v22
	v_mad_u64_u32 v[80:81], s[16:17], v92, 24, s[2:3]
	v_mul_u32_u24_sdwa v20, v20, s18 dst_sel:DWORD dst_unused:UNUSED_PAD src0_sel:BYTE_1 src1_sel:DWORD
	v_add_u32_e32 v93, v20, v21
	ds_read2_b32 v[82:83], v59 offset1:98
	s_waitcnt vmcnt(1)
	v_mul_f16_sdwa v14, v10, v4 dst_sel:DWORD dst_unused:UNUSED_PAD src0_sel:DWORD src1_sel:WORD_1
	v_fma_f16 v14, v9, v4, v14
	v_mul_f16_sdwa v9, v9, v4 dst_sel:DWORD dst_unused:UNUSED_PAD src0_sel:DWORD src1_sel:WORD_1
	v_fma_f16 v15, v10, v4, -v9
	s_waitcnt lgkmcnt(1)
	v_lshrrev_b32_e32 v9, 16, v12
	s_waitcnt vmcnt(0)
	v_mul_f16_sdwa v10, v12, v28 dst_sel:DWORD dst_unused:UNUSED_PAD src0_sel:DWORD src1_sel:WORD_1
	v_fma_f16 v23, v9, v28, v10
	v_mul_f16_sdwa v9, v9, v28 dst_sel:DWORD dst_unused:UNUSED_PAD src0_sel:DWORD src1_sel:WORD_1
	v_fma_f16 v12, v12, v28, -v9
	ds_read2_b32 v[9:10], v48 offset0:136 offset1:234
	v_add_f16_e32 v85, v15, v12
	v_sub_f16_e32 v12, v15, v12
	v_add_f16_e32 v86, v14, v23
	v_sub_f16_e32 v87, v14, v23
	ds_read2_b32 v[14:15], v49 offset0:84 offset1:182
	s_waitcnt lgkmcnt(1)
	v_lshrrev_b32_e32 v23, 16, v9
	v_mul_f16_sdwa v33, v9, v5 dst_sel:DWORD dst_unused:UNUSED_PAD src0_sel:DWORD src1_sel:WORD_1
	v_fma_f16 v35, v23, v5, v33
	v_mul_f16_sdwa v23, v23, v5 dst_sel:DWORD dst_unused:UNUSED_PAD src0_sel:DWORD src1_sel:WORD_1
	v_fma_f16 v9, v9, v5, -v23
	s_waitcnt lgkmcnt(0)
	v_lshrrev_b32_e32 v23, 16, v14
	v_mul_f16_sdwa v33, v14, v27 dst_sel:DWORD dst_unused:UNUSED_PAD src0_sel:DWORD src1_sel:WORD_1
	v_fma_f16 v36, v23, v27, v33
	v_mul_f16_sdwa v23, v23, v27 dst_sel:DWORD dst_unused:UNUSED_PAD src0_sel:DWORD src1_sel:WORD_1
	ds_read2_b32 v[33:34], v60 offset0:76 offset1:174
	v_fma_f16 v14, v14, v27, -v23
	v_add_f16_e32 v88, v9, v14
	v_sub_f16_e32 v9, v9, v14
	v_add_f16_e32 v14, v35, v36
	v_sub_f16_e32 v89, v35, v36
	ds_read2_b32 v[35:36], v58 offset0:16 offset1:114
	s_waitcnt lgkmcnt(1)
	v_lshrrev_b32_e32 v23, 16, v33
	v_mul_f16_sdwa v37, v33, v6 dst_sel:DWORD dst_unused:UNUSED_PAD src0_sel:DWORD src1_sel:WORD_1
	v_fma_f16 v37, v23, v6, v37
	v_mul_f16_sdwa v23, v23, v6 dst_sel:DWORD dst_unused:UNUSED_PAD src0_sel:DWORD src1_sel:WORD_1
	v_fma_f16 v23, v33, v6, -v23
	s_waitcnt lgkmcnt(0)
	v_lshrrev_b32_e32 v33, 16, v35
	v_mul_f16_sdwa v38, v35, v7 dst_sel:DWORD dst_unused:UNUSED_PAD src0_sel:DWORD src1_sel:WORD_1
	v_fma_f16 v38, v33, v7, v38
	v_mul_f16_sdwa v33, v33, v7 dst_sel:DWORD dst_unused:UNUSED_PAD src0_sel:DWORD src1_sel:WORD_1
	v_fma_f16 v33, v35, v7, -v33
	v_add_f16_e32 v35, v23, v33
	v_sub_f16_e32 v33, v33, v23
	v_add_f16_e32 v90, v37, v38
	v_sub_f16_e32 v91, v38, v37
	global_load_dwordx2 v[37:38], v[80:81], off offset:120
	global_load_dwordx4 v[20:23], v[80:81], off offset:104
	v_add_f16_e32 v94, v88, v85
	v_add_f16_e32 v80, v35, v94
	;; [unrolled: 1-line block ×5, first 2 shown]
	v_fma_f16 v95, v80, s0, v94
	v_add_f16_sdwa v80, v82, v81 dst_sel:DWORD dst_unused:UNUSED_PAD src0_sel:WORD_1 src1_sel:DWORD
	v_fma_f16 v81, v81, s0, v80
	v_pack_b32_f16 v82, v94, v80
	v_sub_f16_e32 v80, v85, v35
	v_sub_f16_e32 v35, v35, v88
	;; [unrolled: 1-line block ×3, first 2 shown]
	v_mul_f16_e32 v100, 0x3a52, v80
	v_sub_f16_e32 v90, v90, v14
	v_sub_f16_e32 v97, v33, v9
	v_mul_f16_e32 v94, 0x3a52, v94
	v_fma_f16 v80, v35, s6, v100
	v_add_f16_e32 v96, v33, v9
	v_sub_f16_e32 v33, v12, v33
	v_sub_f16_e32 v99, v91, v89
	v_mul_f16_e32 v97, 0xb846, v97
	v_add_f16_e32 v101, v80, v95
	v_fma_f16 v80, v90, s6, v94
	v_add_f16_e32 v98, v91, v89
	v_sub_f16_e32 v91, v87, v91
	v_add_f16_e32 v96, v96, v12
	v_mul_f16_e32 v99, 0xb846, v99
	v_add_f16_e32 v102, v80, v81
	v_fma_f16 v80, v33, s1, v97
	v_add_f16_e32 v98, v98, v87
	v_fma_f16 v103, v96, s14, v80
	v_fma_f16 v80, v91, s1, v99
	;; [unrolled: 1-line block ×3, first 2 shown]
	v_add_f16_e32 v80, v104, v101
	v_sub_f16_e32 v105, v102, v103
	v_sub_f16_e32 v9, v9, v12
	v_pack_b32_f16 v105, v80, v105
	v_lshl_add_u32 v80, v93, 2, v8
	v_sub_f16_e32 v14, v14, v86
	v_sub_f16_e32 v12, v89, v87
	v_fma_f16 v86, v9, s15, -v97
	v_mul_f16_e32 v9, 0xbb00, v9
	s_waitcnt vmcnt(0)
	s_barrier
	ds_write2_b32 v80, v82, v105 offset1:28
	v_sub_f16_e32 v82, v88, v85
	v_mul_f16_e32 v35, 0x2b26, v35
	v_mul_f16_e32 v85, 0x2b26, v90
	v_fma_f16 v9, v33, s7, v9
	v_fma_f16 v33, v12, s15, -v99
	v_mul_f16_e32 v12, 0xbb00, v12
	v_fma_f16 v35, v82, s12, -v35
	v_fma_f16 v82, v82, s13, -v100
	;; [unrolled: 1-line block ×4, first 2 shown]
	v_fma_f16 v12, v91, s7, v12
	v_add_f16_e32 v82, v82, v95
	v_add_f16_e32 v14, v14, v81
	v_fma_f16 v9, v96, s14, v9
	v_fma_f16 v12, v98, s14, v12
	v_add_f16_e32 v35, v35, v95
	v_add_f16_e32 v85, v85, v81
	v_fma_f16 v81, v96, s14, v86
	v_fma_f16 v33, v98, s14, v33
	v_add_f16_e32 v86, v12, v82
	v_sub_f16_e32 v87, v14, v9
	v_pack_b32_f16 v86, v86, v87
	v_sub_f16_e32 v87, v35, v33
	v_add_f16_e32 v33, v33, v35
	v_sub_f16_e32 v35, v85, v81
	v_sub_f16_e32 v12, v82, v12
	v_add_f16_e32 v9, v9, v14
	v_pack_b32_f16 v14, v33, v35
	v_pack_b32_f16 v9, v12, v9
	ds_write2_b32 v80, v14, v9 offset0:112 offset1:140
	v_lshrrev_b32_e32 v9, 16, v11
	v_add_f16_e32 v88, v81, v85
	v_pack_b32_f16 v87, v87, v88
	v_mul_f16_sdwa v12, v9, v20 dst_sel:DWORD dst_unused:UNUSED_PAD src0_sel:DWORD src1_sel:WORD_1
	v_fma_f16 v12, v11, v20, -v12
	v_mul_f16_sdwa v11, v11, v20 dst_sel:DWORD dst_unused:UNUSED_PAD src0_sel:DWORD src1_sel:WORD_1
	v_fma_f16 v9, v9, v20, v11
	v_lshrrev_b32_e32 v11, 16, v10
	v_mul_f16_sdwa v14, v11, v21 dst_sel:DWORD dst_unused:UNUSED_PAD src0_sel:DWORD src1_sel:WORD_1
	v_fma_f16 v14, v10, v21, -v14
	v_mul_f16_sdwa v10, v10, v21 dst_sel:DWORD dst_unused:UNUSED_PAD src0_sel:DWORD src1_sel:WORD_1
	v_fma_f16 v10, v11, v21, v10
	v_lshrrev_b32_e32 v11, 16, v34
	;; [unrolled: 5-line block ×5, first 2 shown]
	v_mul_f16_sdwa v82, v36, v38 dst_sel:DWORD dst_unused:UNUSED_PAD src0_sel:DWORD src1_sel:WORD_1
	v_fma_f16 v82, v13, v38, -v82
	v_mul_f16_sdwa v13, v13, v38 dst_sel:DWORD dst_unused:UNUSED_PAD src0_sel:DWORD src1_sel:WORD_1
	v_fma_f16 v13, v36, v38, v13
	ds_write2_b32 v80, v86, v87 offset0:56 offset1:84
	v_sub_f16_e32 v36, v101, v104
	v_add_f16_e32 v85, v103, v102
	v_add_f16_e32 v86, v12, v82
	v_sub_f16_e32 v12, v12, v82
	v_add_f16_e32 v82, v9, v13
	v_sub_f16_e32 v9, v9, v13
	v_add_f16_e32 v13, v14, v81
	v_add_f16_e32 v87, v10, v15
	v_sub_f16_e32 v14, v14, v81
	v_sub_f16_e32 v10, v10, v15
	v_add_f16_e32 v15, v33, v35
	v_sub_f16_e32 v33, v35, v33
	v_add_f16_e32 v35, v11, v34
	;; [unrolled: 2-line block ×3, first 2 shown]
	v_add_f16_e32 v81, v87, v82
	v_pack_b32_f16 v36, v36, v85
	v_add_f16_e32 v34, v15, v34
	v_add_f16_e32 v88, v35, v81
	ds_write_b32 v80, v36 offset:672
	v_mul_u32_u24_sdwa v36, v84, s18 dst_sel:DWORD dst_unused:UNUSED_PAD src0_sel:BYTE_1 src1_sel:DWORD
	v_add_f16_e32 v89, v83, v34
	v_add_f16_sdwa v83, v83, v88 dst_sel:DWORD dst_unused:UNUSED_PAD src0_sel:WORD_1 src1_sel:DWORD
	v_add_u32_e32 v36, v36, v92
	v_lshl_add_u32 v81, v36, 2, v8
	v_fma_f16 v8, v34, s0, v89
	v_fma_f16 v34, v88, s0, v83
	v_pack_b32_f16 v36, v89, v83
	v_sub_f16_e32 v83, v86, v15
	v_sub_f16_e32 v84, v82, v35
	;; [unrolled: 1-line block ×6, first 2 shown]
	v_add_f16_e32 v85, v33, v14
	v_sub_f16_e32 v33, v12, v33
	v_add_f16_e32 v89, v11, v10
	v_sub_f16_e32 v11, v9, v11
	v_mul_f16_e32 v83, 0x3a52, v83
	v_mul_f16_e32 v84, 0x3a52, v84
	;; [unrolled: 1-line block ×4, first 2 shown]
	v_add_f16_e32 v85, v85, v12
	v_add_f16_e32 v89, v89, v9
	v_fma_f16 v91, v15, s6, v83
	v_fma_f16 v92, v35, s6, v84
	;; [unrolled: 1-line block ×4, first 2 shown]
	v_add_f16_e32 v91, v91, v8
	v_add_f16_e32 v92, v92, v34
	v_fma_f16 v93, v85, s14, v93
	v_fma_f16 v94, v89, s14, v94
	v_add_f16_e32 v95, v94, v91
	v_sub_f16_e32 v96, v92, v93
	v_sub_f16_e32 v12, v14, v12
	v_pack_b32_f16 v95, v95, v96
	v_sub_f16_e32 v9, v10, v9
	v_mul_f16_e32 v14, 0x2b26, v35
	v_fma_f16 v35, v12, s15, -v88
	v_mul_f16_e32 v12, 0xbb00, v12
	ds_write2_b32 v81, v36, v95 offset1:28
	v_sub_f16_e32 v13, v13, v86
	v_sub_f16_e32 v36, v87, v82
	v_mul_f16_e32 v10, 0x2b26, v15
	v_fma_f16 v12, v33, s7, v12
	v_fma_f16 v33, v9, s15, -v90
	v_mul_f16_e32 v9, 0xbb00, v9
	v_fma_f16 v10, v13, s12, -v10
	v_fma_f16 v13, v13, s13, -v83
	;; [unrolled: 1-line block ×3, first 2 shown]
	v_fma_f16 v9, v11, s7, v9
	v_fma_f16 v14, v36, s12, -v14
	v_add_f16_e32 v10, v10, v8
	v_add_f16_e32 v8, v13, v8
	;; [unrolled: 1-line block ×3, first 2 shown]
	v_fma_f16 v12, v85, s14, v12
	v_fma_f16 v9, v89, s14, v9
	v_add_f16_e32 v11, v14, v34
	v_fma_f16 v14, v85, s14, v35
	v_fma_f16 v15, v89, s14, v33
	v_add_f16_e32 v33, v9, v8
	v_sub_f16_e32 v34, v13, v12
	v_pack_b32_f16 v33, v33, v34
	v_sub_f16_e32 v34, v10, v15
	v_add_f16_e32 v35, v14, v11
	v_add_f16_e32 v10, v15, v10
	v_sub_f16_e32 v11, v11, v14
	v_sub_f16_e32 v8, v8, v9
	v_add_f16_e32 v9, v12, v13
	v_mad_u64_u32 v[82:83], s[2:3], v55, 24, s[2:3]
	v_pack_b32_f16 v10, v10, v11
	v_pack_b32_f16 v8, v8, v9
	ds_write2_b32 v81, v10, v8 offset0:112 offset1:140
	v_sub_f16_e32 v8, v91, v94
	v_add_f16_e32 v9, v93, v92
	v_pack_b32_f16 v34, v34, v35
	v_pack_b32_f16 v8, v8, v9
	ds_write2_b32 v81, v33, v34 offset0:56 offset1:84
	ds_write_b32 v81, v8 offset:672
	s_waitcnt lgkmcnt(0)
	s_barrier
	global_load_dwordx4 v[12:15], v[82:83], off offset:776
	global_load_dwordx4 v[8:11], v[82:83], off offset:3128
	global_load_dwordx2 v[35:36], v[82:83], off offset:792
	global_load_dwordx2 v[33:34], v[82:83], off offset:3144
	ds_read2_b32 v[82:83], v56 offset0:68 offset1:166
	s_movk_i32 s2, 0x1570
	s_mov_b32 s3, 0xbb00
	s_waitcnt lgkmcnt(0)
	v_lshrrev_b32_e32 v84, 16, v82
	s_waitcnt vmcnt(3)
	v_mul_f16_sdwa v85, v82, v12 dst_sel:DWORD dst_unused:UNUSED_PAD src0_sel:DWORD src1_sel:WORD_1
	v_fma_f16 v86, v84, v12, v85
	v_mul_f16_sdwa v84, v84, v12 dst_sel:DWORD dst_unused:UNUSED_PAD src0_sel:DWORD src1_sel:WORD_1
	v_fma_f16 v87, v82, v12, -v84
	ds_read2_b32 v[84:85], v48 offset0:136 offset1:234
	v_lshrrev_b32_e32 v82, 16, v83
	s_waitcnt vmcnt(2)
	v_mul_f16_sdwa v88, v82, v8 dst_sel:DWORD dst_unused:UNUSED_PAD src0_sel:DWORD src1_sel:WORD_1
	v_fma_f16 v88, v83, v8, -v88
	v_mul_f16_sdwa v83, v83, v8 dst_sel:DWORD dst_unused:UNUSED_PAD src0_sel:DWORD src1_sel:WORD_1
	v_fma_f16 v89, v82, v8, v83
	s_waitcnt lgkmcnt(0)
	v_lshrrev_b32_e32 v82, 16, v84
	v_mul_f16_sdwa v83, v84, v13 dst_sel:DWORD dst_unused:UNUSED_PAD src0_sel:DWORD src1_sel:WORD_1
	v_fma_f16 v90, v82, v13, v83
	v_mul_f16_sdwa v82, v82, v13 dst_sel:DWORD dst_unused:UNUSED_PAD src0_sel:DWORD src1_sel:WORD_1
	v_fma_f16 v91, v84, v13, -v82
	ds_read2_b32 v[82:83], v60 offset0:76 offset1:174
	v_lshrrev_b32_e32 v84, 16, v85
	v_mul_f16_sdwa v92, v84, v9 dst_sel:DWORD dst_unused:UNUSED_PAD src0_sel:DWORD src1_sel:WORD_1
	v_fma_f16 v92, v85, v9, -v92
	v_mul_f16_sdwa v85, v85, v9 dst_sel:DWORD dst_unused:UNUSED_PAD src0_sel:DWORD src1_sel:WORD_1
	v_fma_f16 v93, v84, v9, v85
	s_waitcnt lgkmcnt(0)
	v_lshrrev_b32_e32 v84, 16, v82
	v_mul_f16_sdwa v85, v82, v14 dst_sel:DWORD dst_unused:UNUSED_PAD src0_sel:DWORD src1_sel:WORD_1
	v_fma_f16 v94, v84, v14, v85
	v_mul_f16_sdwa v84, v84, v14 dst_sel:DWORD dst_unused:UNUSED_PAD src0_sel:DWORD src1_sel:WORD_1
	v_fma_f16 v95, v82, v14, -v84
	ds_read2_b32 v[84:85], v58 offset0:16 offset1:114
	v_lshrrev_b32_e32 v82, 16, v83
	v_mul_f16_sdwa v96, v82, v10 dst_sel:DWORD dst_unused:UNUSED_PAD src0_sel:DWORD src1_sel:WORD_1
	v_fma_f16 v96, v83, v10, -v96
	v_mul_f16_sdwa v83, v83, v10 dst_sel:DWORD dst_unused:UNUSED_PAD src0_sel:DWORD src1_sel:WORD_1
	v_fma_f16 v97, v82, v10, v83
	s_waitcnt lgkmcnt(0)
	v_lshrrev_b32_e32 v82, 16, v84
	v_mul_f16_sdwa v83, v84, v15 dst_sel:DWORD dst_unused:UNUSED_PAD src0_sel:DWORD src1_sel:WORD_1
	v_fma_f16 v98, v82, v15, v83
	v_mul_f16_sdwa v82, v82, v15 dst_sel:DWORD dst_unused:UNUSED_PAD src0_sel:DWORD src1_sel:WORD_1
	v_fma_f16 v99, v84, v15, -v82
	ds_read2_b32 v[82:83], v49 offset0:84 offset1:182
	v_lshrrev_b32_e32 v84, 16, v85
	v_mul_f16_sdwa v100, v84, v11 dst_sel:DWORD dst_unused:UNUSED_PAD src0_sel:DWORD src1_sel:WORD_1
	v_fma_f16 v100, v85, v11, -v100
	v_mul_f16_sdwa v85, v85, v11 dst_sel:DWORD dst_unused:UNUSED_PAD src0_sel:DWORD src1_sel:WORD_1
	v_fma_f16 v101, v84, v11, v85
	s_waitcnt lgkmcnt(0)
	v_lshrrev_b32_e32 v84, 16, v82
	s_waitcnt vmcnt(1)
	v_mul_f16_sdwa v85, v82, v35 dst_sel:DWORD dst_unused:UNUSED_PAD src0_sel:DWORD src1_sel:WORD_1
	v_fma_f16 v102, v84, v35, v85
	v_mul_f16_sdwa v84, v84, v35 dst_sel:DWORD dst_unused:UNUSED_PAD src0_sel:DWORD src1_sel:WORD_1
	v_fma_f16 v82, v82, v35, -v84
	ds_read2_b32 v[84:85], v43 offset0:152 offset1:250
	v_lshrrev_b32_e32 v103, 16, v83
	s_waitcnt vmcnt(0)
	v_mul_f16_sdwa v104, v103, v33 dst_sel:DWORD dst_unused:UNUSED_PAD src0_sel:DWORD src1_sel:WORD_1
	v_fma_f16 v104, v83, v33, -v104
	v_mul_f16_sdwa v83, v83, v33 dst_sel:DWORD dst_unused:UNUSED_PAD src0_sel:DWORD src1_sel:WORD_1
	v_fma_f16 v103, v103, v33, v83
	s_waitcnt lgkmcnt(0)
	v_lshrrev_b32_e32 v83, 16, v84
	v_mul_f16_sdwa v105, v84, v36 dst_sel:DWORD dst_unused:UNUSED_PAD src0_sel:DWORD src1_sel:WORD_1
	v_fma_f16 v105, v83, v36, v105
	v_mul_f16_sdwa v83, v83, v36 dst_sel:DWORD dst_unused:UNUSED_PAD src0_sel:DWORD src1_sel:WORD_1
	v_fma_f16 v83, v84, v36, -v83
	v_lshrrev_b32_e32 v84, 16, v85
	v_mul_f16_sdwa v106, v84, v34 dst_sel:DWORD dst_unused:UNUSED_PAD src0_sel:DWORD src1_sel:WORD_1
	v_fma_f16 v106, v85, v34, -v106
	v_mul_f16_sdwa v85, v85, v34 dst_sel:DWORD dst_unused:UNUSED_PAD src0_sel:DWORD src1_sel:WORD_1
	v_fma_f16 v84, v84, v34, v85
	v_add_f16_e32 v85, v87, v83
	v_sub_f16_e32 v83, v87, v83
	v_add_f16_e32 v87, v86, v105
	v_sub_f16_e32 v86, v86, v105
	;; [unrolled: 2-line block ×7, first 2 shown]
	v_sub_f16_e32 v85, v85, v102
	v_sub_f16_e32 v105, v102, v105
	v_add_f16_e32 v98, v102, v98
	v_add_f16_e32 v102, v91, v87
	v_sub_f16_e32 v108, v91, v87
	v_sub_f16_e32 v87, v87, v99
	v_sub_f16_e32 v91, v99, v91
	v_add_f16_e32 v99, v99, v102
	v_add_f16_e32 v102, v95, v82
	v_sub_f16_e32 v109, v95, v82
	;; [unrolled: 5-line block ×3, first 2 shown]
	v_sub_f16_e32 v94, v86, v94
	v_sub_f16_e32 v90, v90, v86
	v_add_f16_e32 v86, v83, v86
	v_mul_f16_e32 v83, 0x3a52, v85
	v_mul_f16_e32 v85, 0x2b26, v105
	v_fma_f16 v105, v105, s6, v83
	v_fma_f16 v85, v107, s12, -v85
	v_fma_f16 v107, v107, s13, -v83
	v_mul_f16_e32 v83, 0x3a52, v87
	v_mul_f16_e32 v87, 0x2b26, v91
	v_fma_f16 v91, v91, s6, v83
	v_fma_f16 v87, v108, s12, -v87
	v_fma_f16 v108, v108, s13, -v83
	v_mul_f16_e32 v83, 0xb846, v109
	v_mul_f16_e32 v109, 0xbb00, v82
	v_fma_f16 v111, v82, s15, -v83
	v_fma_f16 v112, v95, s1, v83
	ds_read2_b32 v[82:83], v59 offset1:98
	v_fma_f16 v95, v95, s7, v109
	v_mul_f16_e32 v109, 0xb846, v110
	v_mul_f16_e32 v110, 0xbb00, v90
	v_fma_f16 v90, v90, s15, -v109
	v_fma_f16 v109, v94, s1, v109
	v_fma_f16 v94, v94, s7, v110
	s_waitcnt lgkmcnt(0)
	v_add_f16_e32 v110, v82, v98
	v_add_f16_sdwa v82, v82, v99 dst_sel:DWORD dst_unused:UNUSED_PAD src0_sel:WORD_1 src1_sel:DWORD
	v_fma_f16 v98, v98, s0, v110
	v_fma_f16 v99, v99, s0, v82
	v_add_f16_e32 v105, v105, v98
	v_add_f16_e32 v85, v85, v98
	;; [unrolled: 1-line block ×6, first 2 shown]
	v_fma_f16 v107, v102, s14, v112
	v_fma_f16 v108, v102, s14, v111
	;; [unrolled: 1-line block ×6, first 2 shown]
	v_sub_f16_e32 v94, v85, v90
	v_add_f16_e32 v85, v90, v85
	v_add_f16_e32 v90, v108, v87
	v_sub_f16_e32 v87, v87, v108
	v_add_f16_e32 v108, v86, v98
	v_sub_f16_e32 v86, v98, v86
	v_sub_f16_e32 v98, v99, v95
	v_add_f16_e32 v95, v95, v99
	v_add_f16_e32 v99, v102, v105
	v_sub_f16_e32 v102, v105, v102
	v_sub_f16_e32 v105, v91, v107
	v_add_f16_e32 v91, v107, v91
	v_add_f16_e32 v107, v88, v106
	;; [unrolled: 1-line block ×9, first 2 shown]
	v_pack_b32_f16 v85, v85, v87
	v_add_f16_e32 v112, v111, v112
	v_add_f16_e32 v116, v115, v116
	ds_write_b32 v59, v85 offset:3136
	v_pack_b32_f16 v85, v86, v95
	v_add_f16_e32 v117, v83, v112
	v_add_f16_sdwa v83, v83, v116 dst_sel:DWORD dst_unused:UNUSED_PAD src0_sel:WORD_1 src1_sel:DWORD
	v_pack_b32_f16 v90, v94, v90
	ds_write_b32 v59, v85 offset:3920
	v_pack_b32_f16 v85, v102, v91
	v_pack_b32_f16 v82, v110, v82
	v_pack_b32_f16 v99, v99, v105
	v_pack_b32_f16 v98, v108, v98
	ds_write_b32 v59, v90 offset:2352
	ds_write_b32 v59, v85 offset:4704
	v_pack_b32_f16 v85, v117, v83
	v_sub_f16_e32 v90, v107, v111
	v_sub_f16_e32 v91, v111, v109
	ds_write_b32 v59, v99 offset:784
	ds_write_b32 v59, v98 offset:1568
	ds_write2_b32 v59, v82, v85 offset1:98
	v_sub_f16_e32 v82, v88, v106
	v_sub_f16_e32 v84, v89, v84
	;; [unrolled: 1-line block ×8, first 2 shown]
	v_mul_f16_e32 v90, 0x3a52, v90
	v_mul_f16_e32 v98, 0x2b26, v91
	v_sub_f16_e32 v88, v101, v97
	v_sub_f16_e32 v92, v114, v113
	v_add_f16_e32 v95, v87, v85
	v_sub_f16_e32 v96, v87, v85
	v_sub_f16_e32 v85, v85, v82
	v_fma_f16 v91, v91, s6, v90
	v_fma_f16 v98, v89, s12, -v98
	v_fma_f16 v89, v89, s13, -v90
	v_mul_f16_e32 v90, 0x3a52, v93
	v_mul_f16_e32 v93, 0x2b26, v94
	v_sub_f16_e32 v87, v82, v87
	v_add_f16_e32 v82, v95, v82
	v_add_f16_e32 v95, v88, v86
	v_sub_f16_e32 v97, v88, v86
	v_sub_f16_e32 v86, v86, v84
	v_fma_f16 v94, v94, s6, v90
	v_fma_f16 v93, v92, s12, -v93
	v_fma_f16 v90, v92, s13, -v90
	v_mul_f16_e32 v92, 0xb846, v96
	v_mul_f16_e32 v96, 0xbb00, v85
	v_sub_f16_e32 v88, v84, v88
	v_fma_f16 v85, v85, s15, -v92
	v_fma_f16 v92, v87, s1, v92
	v_fma_f16 v87, v87, s7, v96
	v_mul_f16_e32 v96, 0xb846, v97
	v_mul_f16_e32 v97, 0xbb00, v86
	v_add_f16_e32 v84, v95, v84
	v_fma_f16 v95, v112, s0, v117
	v_fma_f16 v83, v116, s0, v83
	v_fma_f16 v86, v86, s15, -v96
	v_fma_f16 v96, v88, s1, v96
	v_fma_f16 v88, v88, s7, v97
	v_add_f16_e32 v91, v91, v95
	v_add_f16_e32 v89, v89, v95
	;; [unrolled: 1-line block ×5, first 2 shown]
	v_fma_f16 v90, v82, s14, v92
	v_fma_f16 v85, v82, s14, v85
	;; [unrolled: 1-line block ×6, first 2 shown]
	v_add_f16_e32 v92, v85, v93
	v_sub_f16_e32 v85, v93, v85
	v_add_f16_e32 v93, v84, v89
	v_sub_f16_e32 v84, v89, v84
	v_sub_f16_e32 v89, v83, v82
	v_add_f16_e32 v82, v82, v83
	v_add_f16_e32 v83, v87, v91
	v_sub_f16_e32 v87, v91, v87
	v_sub_f16_e32 v91, v94, v90
	v_add_f16_e32 v97, v98, v95
	v_pack_b32_f16 v83, v83, v91
	v_sub_f16_e32 v88, v97, v86
	ds_write_b32 v59, v83 offset:1176
	v_pack_b32_f16 v83, v93, v89
	v_add_f16_e32 v86, v86, v97
	v_add_f16_e32 v90, v90, v94
	ds_write_b32 v59, v83 offset:1960
	v_pack_b32_f16 v83, v88, v92
	v_pack_b32_f16 v82, v84, v82
	ds_write_b32 v59, v83 offset:2744
	v_pack_b32_f16 v83, v86, v85
	ds_write_b32 v59, v82 offset:4312
	;; [unrolled: 2-line block ×3, first 2 shown]
	ds_write_b32 v59, v82 offset:5096
	s_waitcnt lgkmcnt(0)
	s_barrier
	global_load_dword v84, v[29:30], off offset:1392
	v_add_co_u32_e32 v29, vcc, s2, v62
	v_addc_co_u32_e32 v30, vcc, 0, v63, vcc
	global_load_dword v85, v[29:30], off offset:392
	global_load_dword v86, v[29:30], off offset:3136
	;; [unrolled: 1-line block ×6, first 2 shown]
	s_movk_i32 s2, 0x2000
	v_add_co_u32_e32 v62, vcc, s2, v62
	v_addc_co_u32_e32 v63, vcc, 0, v63, vcc
	global_load_dword v91, v[62:63], off offset:1608
	global_load_dword v92, v[29:30], off offset:1568
	;; [unrolled: 1-line block ×4, first 2 shown]
	ds_read2_b32 v[82:83], v59 offset1:98
	global_load_dword v95, v[29:30], off offset:2352
	s_mov_b32 s2, 0xb70e
	s_waitcnt lgkmcnt(0)
	v_lshrrev_b32_e32 v29, 16, v82
	s_waitcnt vmcnt(11)
	v_mul_f16_sdwa v30, v82, v84 dst_sel:DWORD dst_unused:UNUSED_PAD src0_sel:DWORD src1_sel:WORD_1
	v_fma_f16 v96, v29, v84, v30
	v_mul_f16_sdwa v29, v29, v84 dst_sel:DWORD dst_unused:UNUSED_PAD src0_sel:DWORD src1_sel:WORD_1
	v_fma_f16 v82, v82, v84, -v29
	global_load_dword v84, v[62:63], off offset:2000
	v_lshrrev_b32_e32 v29, 16, v83
	global_load_dword v62, v[62:63], off offset:2392
	s_waitcnt vmcnt(12)
	v_mul_f16_sdwa v30, v29, v85 dst_sel:DWORD dst_unused:UNUSED_PAD src0_sel:DWORD src1_sel:WORD_1
	v_fma_f16 v97, v83, v85, -v30
	v_mul_f16_sdwa v30, v83, v85 dst_sel:DWORD dst_unused:UNUSED_PAD src0_sel:DWORD src1_sel:WORD_1
	v_fma_f16 v83, v29, v85, v30
	ds_read2_b32 v[29:30], v58 offset0:16 offset1:114
	v_pack_b32_f16 v63, v82, v96
	v_pack_b32_f16 v82, v97, v83
	ds_write2_b32 v59, v63, v82 offset1:98
	s_waitcnt lgkmcnt(1)
	v_lshrrev_b32_e32 v63, 16, v29
	s_waitcnt vmcnt(11)
	v_mul_f16_sdwa v82, v29, v86 dst_sel:DWORD dst_unused:UNUSED_PAD src0_sel:DWORD src1_sel:WORD_1
	v_fma_f16 v82, v63, v86, v82
	v_mul_f16_sdwa v63, v63, v86 dst_sel:DWORD dst_unused:UNUSED_PAD src0_sel:DWORD src1_sel:WORD_1
	v_lshrrev_b32_e32 v83, 16, v30
	v_fma_f16 v63, v29, v86, -v63
	s_waitcnt vmcnt(10)
	v_mul_f16_sdwa v29, v83, v87 dst_sel:DWORD dst_unused:UNUSED_PAD src0_sel:DWORD src1_sel:WORD_1
	v_fma_f16 v85, v30, v87, -v29
	v_mul_f16_sdwa v86, v30, v87 dst_sel:DWORD dst_unused:UNUSED_PAD src0_sel:DWORD src1_sel:WORD_1
	ds_read2_b32 v[29:30], v56 offset0:68 offset1:166
	v_fma_f16 v83, v83, v87, v86
	v_pack_b32_f16 v63, v63, v82
	v_pack_b32_f16 v82, v85, v83
	ds_write2_b32 v58, v63, v82 offset0:16 offset1:114
	s_waitcnt lgkmcnt(1)
	v_lshrrev_b32_e32 v63, 16, v29
	s_waitcnt vmcnt(9)
	v_mul_f16_sdwa v82, v29, v88 dst_sel:DWORD dst_unused:UNUSED_PAD src0_sel:DWORD src1_sel:WORD_1
	v_fma_f16 v82, v63, v88, v82
	v_mul_f16_sdwa v63, v63, v88 dst_sel:DWORD dst_unused:UNUSED_PAD src0_sel:DWORD src1_sel:WORD_1
	v_lshrrev_b32_e32 v83, 16, v30
	v_fma_f16 v63, v29, v88, -v63
	s_waitcnt vmcnt(8)
	v_mul_f16_sdwa v29, v83, v89 dst_sel:DWORD dst_unused:UNUSED_PAD src0_sel:DWORD src1_sel:WORD_1
	v_fma_f16 v85, v30, v89, -v29
	v_mul_f16_sdwa v86, v30, v89 dst_sel:DWORD dst_unused:UNUSED_PAD src0_sel:DWORD src1_sel:WORD_1
	ds_read2_b32 v[29:30], v49 offset0:84 offset1:182
	v_fma_f16 v83, v83, v89, v86
	v_pack_b32_f16 v63, v63, v82
	v_pack_b32_f16 v82, v85, v83
	ds_write2_b32 v56, v63, v82 offset0:68 offset1:166
	;; [unrolled: 17-line block ×5, first 2 shown]
	s_waitcnt lgkmcnt(1)
	v_lshrrev_b32_e32 v63, 16, v29
	s_waitcnt vmcnt(1)
	v_mul_f16_sdwa v82, v29, v84 dst_sel:DWORD dst_unused:UNUSED_PAD src0_sel:DWORD src1_sel:WORD_1
	v_fma_f16 v82, v63, v84, v82
	v_mul_f16_sdwa v63, v63, v84 dst_sel:DWORD dst_unused:UNUSED_PAD src0_sel:DWORD src1_sel:WORD_1
	v_fma_f16 v29, v29, v84, -v63
	v_lshrrev_b32_e32 v63, 16, v30
	s_waitcnt vmcnt(0)
	v_mul_f16_sdwa v83, v63, v62 dst_sel:DWORD dst_unused:UNUSED_PAD src0_sel:DWORD src1_sel:WORD_1
	v_fma_f16 v83, v30, v62, -v83
	v_mul_f16_sdwa v30, v30, v62 dst_sel:DWORD dst_unused:UNUSED_PAD src0_sel:DWORD src1_sel:WORD_1
	v_fma_f16 v30, v63, v62, v30
	v_pack_b32_f16 v29, v29, v82
	v_pack_b32_f16 v30, v83, v30
	ds_write2_b32 v43, v29, v30 offset0:152 offset1:250
	s_waitcnt lgkmcnt(0)
	s_barrier
	ds_read2_b32 v[29:30], v59 offset1:98
	ds_read2_b32 v[62:63], v60 offset0:76 offset1:174
	ds_read2_b32 v[84:85], v58 offset0:16 offset1:114
	ds_read2_b32 v[86:87], v56 offset0:68 offset1:166
	ds_read2_b32 v[88:89], v49 offset0:84 offset1:182
	ds_read2_b32 v[90:91], v48 offset0:136 offset1:234
	ds_read2_b32 v[92:93], v43 offset0:152 offset1:250
	s_waitcnt lgkmcnt(0)
	s_barrier
	v_pk_add_f16 v83, v29, v63 neg_lo:[0,1] neg_hi:[0,1]
	v_pk_fma_f16 v82, v29, 2.0, v83 op_sel_hi:[1,0,1] neg_lo:[0,0,1] neg_hi:[0,0,1]
	ds_write_b64 v64, v[82:83]
	v_pk_add_f16 v64, v30, v84 neg_lo:[0,1] neg_hi:[0,1]
	v_pk_fma_f16 v63, v30, 2.0, v64 op_sel_hi:[1,0,1] neg_lo:[0,0,1] neg_hi:[0,0,1]
	v_pk_add_f16 v30, v86, v85 neg_lo:[0,1] neg_hi:[0,1]
	v_pk_fma_f16 v29, v86, 2.0, v30 op_sel_hi:[1,0,1] neg_lo:[0,0,1] neg_hi:[0,0,1]
	ds_write_b64 v65, v[63:64]
	ds_write_b64 v66, v[29:30]
	v_pk_add_f16 v30, v87, v88 neg_lo:[0,1] neg_hi:[0,1]
	v_pk_fma_f16 v29, v87, 2.0, v30 op_sel_hi:[1,0,1] neg_lo:[0,0,1] neg_hi:[0,0,1]
	ds_write_b64 v67, v[29:30]
	v_pk_add_f16 v30, v90, v89 neg_lo:[0,1] neg_hi:[0,1]
	v_pk_fma_f16 v29, v90, 2.0, v30 op_sel_hi:[1,0,1] neg_lo:[0,0,1] neg_hi:[0,0,1]
	;; [unrolled: 3-line block ×4, first 2 shown]
	ds_write_b64 v70, v[29:30]
	s_waitcnt lgkmcnt(0)
	s_barrier
	ds_read2_b32 v[29:30], v60 offset0:76 offset1:174
	ds_read2_b32 v[62:63], v59 offset1:98
	s_waitcnt lgkmcnt(1)
	v_lshrrev_b32_e32 v64, 16, v30
	v_mul_f16_sdwa v65, v61, v30 dst_sel:DWORD dst_unused:UNUSED_PAD src0_sel:WORD_1 src1_sel:DWORD
	v_fma_f16 v65, v61, v64, -v65
	v_mul_f16_sdwa v64, v61, v64 dst_sel:DWORD dst_unused:UNUSED_PAD src0_sel:WORD_1 src1_sel:DWORD
	v_fma_f16 v30, v61, v30, v64
	s_waitcnt lgkmcnt(0)
	v_lshrrev_b32_e32 v64, 16, v62
	v_sub_f16_e32 v30, v62, v30
	v_sub_f16_e32 v65, v64, v65
	v_fma_f16 v64, v64, 2.0, -v65
	v_fma_f16 v62, v62, 2.0, -v30
	v_pack_b32_f16 v62, v62, v64
	v_pack_b32_f16 v30, v30, v65
	ds_read2_b32 v[64:65], v58 offset0:16 offset1:114
	ds_read2_b32 v[66:67], v56 offset0:68 offset1:166
	;; [unrolled: 1-line block ×5, first 2 shown]
	s_waitcnt lgkmcnt(0)
	s_barrier
	ds_write2_b32 v71, v62, v30 offset1:2
	v_lshrrev_b32_e32 v30, 16, v64
	v_mul_f16_sdwa v62, v61, v64 dst_sel:DWORD dst_unused:UNUSED_PAD src0_sel:WORD_1 src1_sel:DWORD
	v_fma_f16 v62, v61, v30, -v62
	v_mul_f16_sdwa v30, v61, v30 dst_sel:DWORD dst_unused:UNUSED_PAD src0_sel:WORD_1 src1_sel:DWORD
	v_fma_f16 v30, v61, v64, v30
	v_lshrrev_b32_e32 v64, 16, v63
	v_sub_f16_e32 v30, v63, v30
	v_sub_f16_e32 v62, v64, v62
	v_fma_f16 v63, v63, 2.0, -v30
	v_fma_f16 v64, v64, 2.0, -v62
	v_pack_b32_f16 v63, v63, v64
	v_pack_b32_f16 v30, v30, v62
	ds_write2_b32 v72, v63, v30 offset1:2
	v_lshrrev_b32_e32 v30, 16, v65
	v_mul_f16_sdwa v62, v61, v30 dst_sel:DWORD dst_unused:UNUSED_PAD src0_sel:WORD_1 src1_sel:DWORD
	v_mul_f16_sdwa v63, v61, v65 dst_sel:DWORD dst_unused:UNUSED_PAD src0_sel:WORD_1 src1_sel:DWORD
	v_fma_f16 v62, v61, v65, v62
	v_fma_f16 v30, v61, v30, -v63
	v_lshrrev_b32_e32 v63, 16, v66
	v_sub_f16_e32 v62, v66, v62
	v_sub_f16_e32 v30, v63, v30
	v_fma_f16 v63, v63, 2.0, -v30
	v_fma_f16 v64, v66, 2.0, -v62
	v_pack_b32_f16 v63, v64, v63
	v_pack_b32_f16 v30, v62, v30
	ds_write2_b32 v73, v63, v30 offset1:2
	v_lshrrev_b32_e32 v30, 16, v68
	v_mul_f16_sdwa v62, v61, v68 dst_sel:DWORD dst_unused:UNUSED_PAD src0_sel:WORD_1 src1_sel:DWORD
	v_fma_f16 v62, v61, v30, -v62
	v_mul_f16_sdwa v30, v61, v30 dst_sel:DWORD dst_unused:UNUSED_PAD src0_sel:WORD_1 src1_sel:DWORD
	v_fma_f16 v30, v61, v68, v30
	v_lshrrev_b32_e32 v63, 16, v67
	v_sub_f16_e32 v30, v67, v30
	v_sub_f16_e32 v62, v63, v62
	v_fma_f16 v64, v67, 2.0, -v30
	v_fma_f16 v63, v63, 2.0, -v62
	v_pack_b32_f16 v63, v64, v63
	v_pack_b32_f16 v30, v30, v62
	ds_write2_b32 v74, v63, v30 offset1:2
	v_lshrrev_b32_e32 v30, 16, v69
	v_mul_f16_sdwa v62, v61, v30 dst_sel:DWORD dst_unused:UNUSED_PAD src0_sel:WORD_1 src1_sel:DWORD
	v_mul_f16_sdwa v63, v61, v69 dst_sel:DWORD dst_unused:UNUSED_PAD src0_sel:WORD_1 src1_sel:DWORD
	v_fma_f16 v62, v61, v69, v62
	v_fma_f16 v30, v61, v30, -v63
	v_lshrrev_b32_e32 v63, 16, v82
	v_sub_f16_e32 v62, v82, v62
	v_sub_f16_e32 v30, v63, v30
	v_fma_f16 v63, v63, 2.0, -v30
	v_fma_f16 v64, v82, 2.0, -v62
	v_pack_b32_f16 v63, v64, v63
	v_pack_b32_f16 v30, v62, v30
	ds_write2_b32 v75, v63, v30 offset1:2
	v_lshrrev_b32_e32 v30, 16, v84
	v_mul_f16_sdwa v62, v61, v84 dst_sel:DWORD dst_unused:UNUSED_PAD src0_sel:WORD_1 src1_sel:DWORD
	v_fma_f16 v62, v61, v30, -v62
	v_mul_f16_sdwa v30, v61, v30 dst_sel:DWORD dst_unused:UNUSED_PAD src0_sel:WORD_1 src1_sel:DWORD
	v_fma_f16 v30, v61, v84, v30
	v_lshrrev_b32_e32 v63, 16, v83
	v_sub_f16_e32 v30, v83, v30
	v_sub_f16_e32 v62, v63, v62
	v_fma_f16 v64, v83, 2.0, -v30
	v_fma_f16 v63, v63, 2.0, -v62
	v_pack_b32_f16 v63, v64, v63
	v_pack_b32_f16 v30, v30, v62
	ds_write2_b32 v76, v63, v30 offset1:2
	v_lshrrev_b32_e32 v30, 16, v85
	v_mul_f16_sdwa v62, v61, v30 dst_sel:DWORD dst_unused:UNUSED_PAD src0_sel:WORD_1 src1_sel:DWORD
	v_fma_f16 v62, v61, v85, v62
	v_mul_f16_sdwa v63, v61, v85 dst_sel:DWORD dst_unused:UNUSED_PAD src0_sel:WORD_1 src1_sel:DWORD
	v_fma_f16 v30, v61, v30, -v63
	v_sub_f16_e32 v61, v29, v62
	v_lshrrev_b32_e32 v62, 16, v29
	v_sub_f16_e32 v30, v62, v30
	v_fma_f16 v29, v29, 2.0, -v61
	v_fma_f16 v62, v62, 2.0, -v30
	v_pack_b32_f16 v29, v29, v62
	v_pack_b32_f16 v30, v61, v30
	ds_write2_b32 v77, v29, v30 offset1:2
	s_waitcnt lgkmcnt(0)
	s_barrier
	ds_read2_b32 v[29:30], v56 offset0:68 offset1:166
	ds_read2_b32 v[61:62], v48 offset0:136 offset1:234
	s_waitcnt lgkmcnt(1)
	v_lshrrev_b32_e32 v63, 16, v29
	v_mul_f16_sdwa v64, v0, v29 dst_sel:DWORD dst_unused:UNUSED_PAD src0_sel:WORD_1 src1_sel:DWORD
	v_fma_f16 v65, v0, v63, -v64
	v_mul_f16_sdwa v63, v0, v63 dst_sel:DWORD dst_unused:UNUSED_PAD src0_sel:WORD_1 src1_sel:DWORD
	v_fma_f16 v29, v0, v29, v63
	s_waitcnt lgkmcnt(0)
	v_lshrrev_b32_e32 v0, 16, v61
	ds_read2_b32 v[63:64], v60 offset0:76 offset1:174
	v_mul_f16_sdwa v66, v1, v61 dst_sel:DWORD dst_unused:UNUSED_PAD src0_sel:WORD_1 src1_sel:DWORD
	v_fma_f16 v66, v1, v0, -v66
	v_mul_f16_sdwa v0, v1, v0 dst_sel:DWORD dst_unused:UNUSED_PAD src0_sel:WORD_1 src1_sel:DWORD
	v_fma_f16 v61, v1, v61, v0
	ds_read2_b32 v[0:1], v58 offset0:16 offset1:114
	s_waitcnt lgkmcnt(1)
	v_lshrrev_b32_e32 v67, 16, v63
	v_mul_f16_sdwa v68, v2, v63 dst_sel:DWORD dst_unused:UNUSED_PAD src0_sel:WORD_1 src1_sel:DWORD
	v_fma_f16 v68, v2, v67, -v68
	v_mul_f16_sdwa v67, v2, v67 dst_sel:DWORD dst_unused:UNUSED_PAD src0_sel:WORD_1 src1_sel:DWORD
	v_fma_f16 v63, v2, v63, v67
	s_waitcnt lgkmcnt(0)
	v_lshrrev_b32_e32 v2, 16, v0
	v_mul_f16_sdwa v67, v3, v0 dst_sel:DWORD dst_unused:UNUSED_PAD src0_sel:WORD_1 src1_sel:DWORD
	v_fma_f16 v67, v3, v2, -v67
	v_mul_f16_sdwa v2, v3, v2 dst_sel:DWORD dst_unused:UNUSED_PAD src0_sel:WORD_1 src1_sel:DWORD
	v_fma_f16 v69, v3, v0, v2
	v_lshrrev_b32_e32 v0, 16, v30
	v_mul_f16_sdwa v2, v16, v0 dst_sel:DWORD dst_unused:UNUSED_PAD src0_sel:WORD_1 src1_sel:DWORD
	v_fma_f16 v70, v16, v30, v2
	v_mul_f16_sdwa v2, v16, v30 dst_sel:DWORD dst_unused:UNUSED_PAD src0_sel:WORD_1 src1_sel:DWORD
	v_fma_f16 v16, v16, v0, -v2
	v_lshrrev_b32_e32 v0, 16, v62
	v_mul_f16_sdwa v2, v17, v0 dst_sel:DWORD dst_unused:UNUSED_PAD src0_sel:WORD_1 src1_sel:DWORD
	v_fma_f16 v30, v17, v62, v2
	v_mul_f16_sdwa v2, v17, v62 dst_sel:DWORD dst_unused:UNUSED_PAD src0_sel:WORD_1 src1_sel:DWORD
	v_fma_f16 v17, v17, v0, -v2
	;; [unrolled: 5-line block ×3, first 2 shown]
	v_lshrrev_b32_e32 v0, 16, v1
	ds_read2_b32 v[2:3], v49 offset0:84 offset1:182
	v_mul_f16_sdwa v64, v19, v0 dst_sel:DWORD dst_unused:UNUSED_PAD src0_sel:WORD_1 src1_sel:DWORD
	v_fma_f16 v64, v19, v1, v64
	v_mul_f16_sdwa v1, v19, v1 dst_sel:DWORD dst_unused:UNUSED_PAD src0_sel:WORD_1 src1_sel:DWORD
	v_fma_f16 v19, v19, v0, -v1
	ds_read2_b32 v[0:1], v43 offset0:152 offset1:250
	s_waitcnt lgkmcnt(1)
	v_lshrrev_b32_e32 v71, 16, v2
	v_mul_f16_sdwa v72, v25, v2 dst_sel:DWORD dst_unused:UNUSED_PAD src0_sel:WORD_1 src1_sel:DWORD
	v_fma_f16 v72, v25, v71, -v72
	v_mul_f16_sdwa v71, v25, v71 dst_sel:DWORD dst_unused:UNUSED_PAD src0_sel:WORD_1 src1_sel:DWORD
	v_fma_f16 v2, v25, v2, v71
	s_waitcnt lgkmcnt(0)
	v_lshrrev_b32_e32 v25, 16, v0
	v_mul_f16_sdwa v71, v26, v0 dst_sel:DWORD dst_unused:UNUSED_PAD src0_sel:WORD_1 src1_sel:DWORD
	v_fma_f16 v71, v26, v25, -v71
	v_mul_f16_sdwa v25, v26, v25 dst_sel:DWORD dst_unused:UNUSED_PAD src0_sel:WORD_1 src1_sel:DWORD
	v_fma_f16 v0, v26, v0, v25
	v_lshrrev_b32_e32 v25, 16, v3
	v_mul_f16_sdwa v26, v31, v25 dst_sel:DWORD dst_unused:UNUSED_PAD src0_sel:WORD_1 src1_sel:DWORD
	v_fma_f16 v26, v31, v3, v26
	v_mul_f16_sdwa v3, v31, v3 dst_sel:DWORD dst_unused:UNUSED_PAD src0_sel:WORD_1 src1_sel:DWORD
	v_fma_f16 v3, v31, v25, -v3
	v_lshrrev_b32_e32 v25, 16, v1
	v_mul_f16_sdwa v31, v32, v25 dst_sel:DWORD dst_unused:UNUSED_PAD src0_sel:WORD_1 src1_sel:DWORD
	v_fma_f16 v31, v32, v1, v31
	v_mul_f16_sdwa v1, v32, v1 dst_sel:DWORD dst_unused:UNUSED_PAD src0_sel:WORD_1 src1_sel:DWORD
	v_fma_f16 v25, v32, v25, -v1
	v_add_f16_e32 v32, v29, v0
	v_sub_f16_e32 v29, v29, v0
	ds_read2_b32 v[0:1], v59 offset1:98
	v_add_f16_e32 v73, v65, v71
	v_sub_f16_e32 v65, v65, v71
	v_add_f16_e32 v71, v61, v2
	v_sub_f16_e32 v2, v61, v2
	;; [unrolled: 2-line block ×5, first 2 shown]
	v_add_f16_e32 v68, v71, v32
	v_add_f16_e32 v74, v61, v73
	;; [unrolled: 1-line block ×4, first 2 shown]
	s_waitcnt lgkmcnt(0)
	v_add_f16_e32 v75, v0, v68
	v_add_f16_sdwa v0, v0, v74 dst_sel:DWORD dst_unused:UNUSED_PAD src0_sel:WORD_1 src1_sel:DWORD
	v_fma_f16 v68, v68, s0, v75
	v_fma_f16 v74, v74, s0, v0
	v_pack_b32_f16 v0, v75, v0
	v_sub_f16_e32 v75, v32, v72
	v_sub_f16_e32 v76, v73, v69
	;; [unrolled: 1-line block ×6, first 2 shown]
	v_add_f16_e32 v77, v63, v2
	v_sub_f16_e32 v63, v29, v63
	v_add_f16_e32 v83, v67, v66
	v_sub_f16_e32 v67, v65, v67
	v_mul_f16_e32 v75, 0x3a52, v75
	v_mul_f16_e32 v76, 0x3a52, v76
	;; [unrolled: 1-line block ×4, first 2 shown]
	v_add_f16_e32 v77, v77, v29
	v_add_f16_e32 v83, v83, v65
	v_fma_f16 v85, v72, s6, v75
	v_fma_f16 v86, v69, s6, v76
	;; [unrolled: 1-line block ×4, first 2 shown]
	v_add_f16_e32 v85, v85, v68
	v_add_f16_e32 v86, v86, v74
	v_fma_f16 v87, v77, s2, v87
	v_fma_f16 v88, v83, s2, v88
	v_add_f16_e32 v89, v88, v85
	v_sub_f16_e32 v90, v86, v87
	v_sub_f16_e32 v2, v2, v29
	v_pack_b32_f16 v89, v89, v90
	v_sub_f16_e32 v29, v66, v65
	v_fma_f16 v66, v2, s3, -v82
	v_mul_f16_e32 v2, 0x3b00, v2
	s_barrier
	ds_write2_b32 v78, v0, v89 offset1:4
	v_sub_f16_e32 v0, v71, v32
	v_sub_f16_e32 v32, v61, v73
	v_mul_f16_e32 v61, 0x2b26, v72
	v_mul_f16_e32 v65, 0x2b26, v69
	v_fma_f16 v2, v63, s1, v2
	v_fma_f16 v63, v29, s3, -v84
	v_mul_f16_e32 v29, 0x3b00, v29
	v_fma_f16 v61, v0, s12, -v61
	v_fma_f16 v0, v0, s13, -v75
	;; [unrolled: 1-line block ×4, first 2 shown]
	v_fma_f16 v29, v67, s1, v29
	v_add_f16_e32 v0, v0, v68
	v_add_f16_e32 v32, v32, v74
	v_fma_f16 v2, v77, s2, v2
	v_fma_f16 v29, v83, s2, v29
	v_add_f16_e32 v61, v61, v68
	v_add_f16_e32 v65, v65, v74
	v_fma_f16 v66, v77, s2, v66
	v_fma_f16 v63, v83, s2, v63
	v_add_f16_e32 v67, v29, v0
	v_sub_f16_e32 v68, v32, v2
	v_pack_b32_f16 v67, v67, v68
	v_sub_f16_e32 v68, v61, v63
	v_add_f16_e32 v61, v63, v61
	v_sub_f16_e32 v63, v65, v66
	v_sub_f16_e32 v0, v0, v29
	v_add_f16_e32 v2, v2, v32
	v_pack_b32_f16 v29, v61, v63
	v_pack_b32_f16 v0, v0, v2
	ds_write2_b32 v78, v29, v0 offset0:16 offset1:20
	v_sub_f16_e32 v0, v85, v88
	v_add_f16_e32 v2, v87, v86
	v_pack_b32_f16 v0, v0, v2
	ds_write_b32 v78, v0 offset:96
	v_add_f16_e32 v0, v70, v31
	v_add_f16_e32 v29, v16, v25
	v_sub_f16_e32 v16, v16, v25
	v_add_f16_e32 v25, v30, v26
	v_sub_f16_e32 v26, v30, v26
	;; [unrolled: 2-line block ×3, first 2 shown]
	v_add_f16_e32 v17, v62, v64
	v_add_f16_e32 v32, v18, v19
	v_sub_f16_e32 v18, v19, v18
	v_add_f16_e32 v19, v25, v0
	v_add_f16_e32 v61, v30, v29
	;; [unrolled: 1-line block ×5, first 2 shown]
	v_pack_b32_f16 v68, v68, v69
	v_sub_f16_e32 v2, v70, v31
	v_sub_f16_e32 v31, v64, v62
	v_add_f16_e32 v62, v1, v19
	v_add_f16_sdwa v1, v1, v61 dst_sel:DWORD dst_unused:UNUSED_PAD src0_sel:WORD_1 src1_sel:DWORD
	ds_write2_b32 v78, v67, v68 offset0:8 offset1:12
	v_fma_f16 v19, v19, s0, v62
	v_fma_f16 v61, v61, s0, v1
	v_pack_b32_f16 v1, v62, v1
	v_sub_f16_e32 v62, v0, v17
	v_sub_f16_e32 v63, v29, v32
	;; [unrolled: 1-line block ×6, first 2 shown]
	v_add_f16_e32 v64, v31, v26
	v_sub_f16_e32 v31, v2, v31
	v_add_f16_e32 v66, v18, v3
	v_sub_f16_e32 v18, v16, v18
	v_mul_f16_e32 v62, 0x3a52, v62
	v_mul_f16_e32 v63, 0x3a52, v63
	;; [unrolled: 1-line block ×4, first 2 shown]
	v_add_f16_e32 v64, v64, v2
	v_add_f16_e32 v66, v66, v16
	v_fma_f16 v68, v17, s6, v62
	v_fma_f16 v69, v32, s6, v63
	;; [unrolled: 1-line block ×4, first 2 shown]
	v_add_f16_e32 v68, v68, v19
	v_add_f16_e32 v69, v69, v61
	v_fma_f16 v70, v64, s2, v70
	v_fma_f16 v71, v66, s2, v71
	v_add_f16_e32 v72, v71, v68
	v_sub_f16_e32 v73, v69, v70
	v_pack_b32_f16 v72, v72, v73
	v_sub_f16_e32 v2, v26, v2
	v_sub_f16_e32 v3, v3, v16
	ds_write2_b32 v79, v1, v72 offset1:4
	v_sub_f16_e32 v0, v25, v0
	v_sub_f16_e32 v1, v30, v29
	v_mul_f16_e32 v16, 0x2b26, v17
	v_mul_f16_e32 v17, 0x2b26, v32
	v_fma_f16 v25, v2, s3, -v65
	v_mul_f16_e32 v2, 0x3b00, v2
	v_fma_f16 v26, v3, s3, -v67
	;; [unrolled: 2-line block ×3, first 2 shown]
	v_fma_f16 v0, v0, s13, -v62
	v_fma_f16 v17, v1, s12, -v17
	;; [unrolled: 1-line block ×3, first 2 shown]
	v_fma_f16 v2, v31, s1, v2
	v_fma_f16 v3, v18, s1, v3
	v_add_f16_e32 v0, v0, v19
	v_add_f16_e32 v1, v1, v61
	v_fma_f16 v2, v64, s2, v2
	v_fma_f16 v3, v66, s2, v3
	v_add_f16_e32 v16, v16, v19
	v_add_f16_e32 v17, v17, v61
	v_fma_f16 v18, v64, s2, v25
	v_fma_f16 v19, v66, s2, v26
	v_add_f16_e32 v25, v3, v0
	v_sub_f16_e32 v26, v1, v2
	v_pack_b32_f16 v25, v25, v26
	v_sub_f16_e32 v26, v16, v19
	v_add_f16_e32 v29, v18, v17
	v_add_f16_e32 v16, v19, v16
	v_sub_f16_e32 v17, v17, v18
	v_sub_f16_e32 v0, v0, v3
	v_add_f16_e32 v1, v2, v1
	v_pack_b32_f16 v2, v16, v17
	v_pack_b32_f16 v0, v0, v1
	ds_write2_b32 v79, v2, v0 offset0:16 offset1:20
	v_sub_f16_e32 v0, v68, v71
	v_add_f16_e32 v1, v70, v69
	v_pack_b32_f16 v26, v26, v29
	v_pack_b32_f16 v0, v0, v1
	ds_write2_b32 v79, v25, v26 offset0:8 offset1:12
	ds_write_b32 v79, v0 offset:96
	s_waitcnt lgkmcnt(0)
	s_barrier
	ds_read2_b32 v[0:1], v56 offset0:68 offset1:166
	ds_read2_b32 v[2:3], v48 offset0:136 offset1:234
	s_waitcnt lgkmcnt(1)
	v_lshrrev_b32_e32 v16, 16, v0
	v_mul_f16_sdwa v17, v4, v0 dst_sel:DWORD dst_unused:UNUSED_PAD src0_sel:WORD_1 src1_sel:DWORD
	v_fma_f16 v18, v4, v16, -v17
	v_mul_f16_sdwa v16, v4, v16 dst_sel:DWORD dst_unused:UNUSED_PAD src0_sel:WORD_1 src1_sel:DWORD
	v_fma_f16 v19, v4, v0, v16
	s_waitcnt lgkmcnt(0)
	v_lshrrev_b32_e32 v0, 16, v2
	ds_read2_b32 v[16:17], v60 offset0:76 offset1:174
	v_mul_f16_sdwa v4, v5, v2 dst_sel:DWORD dst_unused:UNUSED_PAD src0_sel:WORD_1 src1_sel:DWORD
	v_fma_f16 v25, v5, v0, -v4
	v_mul_f16_sdwa v0, v5, v0 dst_sel:DWORD dst_unused:UNUSED_PAD src0_sel:WORD_1 src1_sel:DWORD
	v_fma_f16 v26, v5, v2, v0
	ds_read2_b32 v[4:5], v58 offset0:16 offset1:114
	s_waitcnt lgkmcnt(1)
	v_lshrrev_b32_e32 v0, 16, v16
	v_mul_f16_sdwa v2, v6, v16 dst_sel:DWORD dst_unused:UNUSED_PAD src0_sel:WORD_1 src1_sel:DWORD
	v_fma_f16 v29, v6, v0, -v2
	v_mul_f16_sdwa v0, v6, v0 dst_sel:DWORD dst_unused:UNUSED_PAD src0_sel:WORD_1 src1_sel:DWORD
	v_fma_f16 v6, v6, v16, v0
	s_waitcnt lgkmcnt(0)
	v_lshrrev_b32_e32 v0, 16, v4
	v_mul_f16_sdwa v2, v7, v4 dst_sel:DWORD dst_unused:UNUSED_PAD src0_sel:WORD_1 src1_sel:DWORD
	v_fma_f16 v16, v7, v0, -v2
	v_mul_f16_sdwa v0, v7, v0 dst_sel:DWORD dst_unused:UNUSED_PAD src0_sel:WORD_1 src1_sel:DWORD
	v_fma_f16 v4, v7, v4, v0
	v_lshrrev_b32_e32 v0, 16, v1
	v_mul_f16_sdwa v2, v20, v0 dst_sel:DWORD dst_unused:UNUSED_PAD src0_sel:WORD_1 src1_sel:DWORD
	v_fma_f16 v7, v20, v1, v2
	v_mul_f16_sdwa v1, v20, v1 dst_sel:DWORD dst_unused:UNUSED_PAD src0_sel:WORD_1 src1_sel:DWORD
	v_fma_f16 v20, v20, v0, -v1
	v_lshrrev_b32_e32 v0, 16, v3
	v_mul_f16_sdwa v1, v21, v0 dst_sel:DWORD dst_unused:UNUSED_PAD src0_sel:WORD_1 src1_sel:DWORD
	v_fma_f16 v30, v21, v3, v1
	v_mul_f16_sdwa v1, v21, v3 dst_sel:DWORD dst_unused:UNUSED_PAD src0_sel:WORD_1 src1_sel:DWORD
	v_fma_f16 v21, v21, v0, -v1
	v_lshrrev_b32_e32 v0, 16, v17
	v_mul_f16_sdwa v1, v22, v0 dst_sel:DWORD dst_unused:UNUSED_PAD src0_sel:WORD_1 src1_sel:DWORD
	v_fma_f16 v31, v22, v17, v1
	v_mul_f16_sdwa v1, v22, v17 dst_sel:DWORD dst_unused:UNUSED_PAD src0_sel:WORD_1 src1_sel:DWORD
	v_lshrrev_b32_e32 v2, 16, v5
	v_fma_f16 v17, v22, v0, -v1
	ds_read2_b32 v[0:1], v49 offset0:84 offset1:182
	v_mul_f16_sdwa v3, v23, v2 dst_sel:DWORD dst_unused:UNUSED_PAD src0_sel:WORD_1 src1_sel:DWORD
	v_fma_f16 v22, v23, v5, v3
	v_mul_f16_sdwa v3, v23, v5 dst_sel:DWORD dst_unused:UNUSED_PAD src0_sel:WORD_1 src1_sel:DWORD
	v_fma_f16 v5, v23, v2, -v3
	ds_read2_b32 v[2:3], v43 offset0:152 offset1:250
	s_waitcnt lgkmcnt(1)
	v_lshrrev_b32_e32 v23, 16, v0
	v_mul_f16_sdwa v32, v27, v0 dst_sel:DWORD dst_unused:UNUSED_PAD src0_sel:WORD_1 src1_sel:DWORD
	v_fma_f16 v32, v27, v23, -v32
	v_mul_f16_sdwa v23, v27, v23 dst_sel:DWORD dst_unused:UNUSED_PAD src0_sel:WORD_1 src1_sel:DWORD
	v_fma_f16 v0, v27, v0, v23
	s_waitcnt lgkmcnt(0)
	v_lshrrev_b32_e32 v23, 16, v2
	v_mul_f16_sdwa v27, v28, v2 dst_sel:DWORD dst_unused:UNUSED_PAD src0_sel:WORD_1 src1_sel:DWORD
	v_fma_f16 v27, v28, v23, -v27
	v_mul_f16_sdwa v23, v28, v23 dst_sel:DWORD dst_unused:UNUSED_PAD src0_sel:WORD_1 src1_sel:DWORD
	v_fma_f16 v2, v28, v2, v23
	v_lshrrev_b32_e32 v23, 16, v1
	v_mul_f16_sdwa v28, v37, v23 dst_sel:DWORD dst_unused:UNUSED_PAD src0_sel:WORD_1 src1_sel:DWORD
	v_fma_f16 v28, v37, v1, v28
	v_mul_f16_sdwa v1, v37, v1 dst_sel:DWORD dst_unused:UNUSED_PAD src0_sel:WORD_1 src1_sel:DWORD
	v_fma_f16 v23, v37, v23, -v1
	v_lshrrev_b32_e32 v1, 16, v3
	v_mul_f16_sdwa v37, v38, v1 dst_sel:DWORD dst_unused:UNUSED_PAD src0_sel:WORD_1 src1_sel:DWORD
	v_fma_f16 v37, v38, v3, v37
	v_mul_f16_sdwa v3, v38, v3 dst_sel:DWORD dst_unused:UNUSED_PAD src0_sel:WORD_1 src1_sel:DWORD
	v_fma_f16 v3, v38, v1, -v3
	v_add_f16_e32 v38, v19, v2
	v_sub_f16_e32 v2, v19, v2
	v_add_f16_e32 v19, v18, v27
	v_sub_f16_e32 v18, v18, v27
	;; [unrolled: 2-line block ×3, first 2 shown]
	ds_read2_b32 v[0:1], v59 offset1:98
	v_add_f16_e32 v61, v25, v32
	v_sub_f16_e32 v25, v25, v32
	v_add_f16_e32 v32, v6, v4
	v_sub_f16_e32 v4, v4, v6
	;; [unrolled: 2-line block ×3, first 2 shown]
	v_add_f16_e32 v29, v27, v38
	v_add_f16_e32 v62, v61, v19
	;; [unrolled: 1-line block ×4, first 2 shown]
	s_waitcnt lgkmcnt(0)
	v_add_f16_e32 v63, v0, v29
	v_add_f16_sdwa v0, v0, v62 dst_sel:DWORD dst_unused:UNUSED_PAD src0_sel:WORD_1 src1_sel:DWORD
	v_fma_f16 v29, v29, s0, v63
	v_fma_f16 v62, v62, s0, v0
	v_pack_b32_f16 v0, v63, v0
	v_sub_f16_e32 v63, v38, v32
	v_sub_f16_e32 v64, v19, v6
	;; [unrolled: 1-line block ×6, first 2 shown]
	v_add_f16_e32 v65, v4, v26
	v_sub_f16_e32 v4, v2, v4
	v_add_f16_e32 v67, v16, v25
	v_sub_f16_e32 v16, v18, v16
	v_mul_f16_e32 v63, 0x3a52, v63
	v_mul_f16_e32 v64, 0x3a52, v64
	;; [unrolled: 1-line block ×4, first 2 shown]
	v_add_f16_e32 v65, v65, v2
	v_add_f16_e32 v67, v67, v18
	v_fma_f16 v69, v32, s6, v63
	v_fma_f16 v70, v6, s6, v64
	;; [unrolled: 1-line block ×4, first 2 shown]
	v_add_f16_e32 v69, v69, v29
	v_add_f16_e32 v70, v70, v62
	v_fma_f16 v71, v65, s2, v71
	v_fma_f16 v72, v67, s2, v72
	v_add_f16_e32 v73, v72, v69
	v_sub_f16_e32 v74, v70, v71
	v_sub_f16_e32 v2, v26, v2
	v_pack_b32_f16 v73, v73, v74
	v_sub_f16_e32 v18, v25, v18
	v_fma_f16 v26, v2, s3, -v66
	v_mul_f16_e32 v2, 0x3b00, v2
	s_barrier
	ds_write2_b32 v80, v0, v73 offset1:28
	v_sub_f16_e32 v0, v27, v38
	v_sub_f16_e32 v19, v61, v19
	v_mul_f16_e32 v25, 0x2b26, v32
	v_mul_f16_e32 v6, 0x2b26, v6
	v_fma_f16 v2, v4, s1, v2
	v_fma_f16 v4, v18, s3, -v68
	v_mul_f16_e32 v18, 0x3b00, v18
	v_fma_f16 v25, v0, s12, -v25
	v_fma_f16 v0, v0, s13, -v63
	;; [unrolled: 1-line block ×4, first 2 shown]
	v_fma_f16 v16, v16, s1, v18
	v_add_f16_e32 v0, v0, v29
	v_add_f16_e32 v19, v19, v62
	v_fma_f16 v2, v65, s2, v2
	v_fma_f16 v16, v67, s2, v16
	v_add_f16_e32 v18, v25, v29
	v_add_f16_e32 v6, v6, v62
	v_fma_f16 v25, v65, s2, v26
	v_fma_f16 v4, v67, s2, v4
	v_add_f16_e32 v26, v16, v0
	v_sub_f16_e32 v27, v19, v2
	v_pack_b32_f16 v26, v26, v27
	v_sub_f16_e32 v27, v18, v4
	v_add_f16_e32 v29, v25, v6
	v_add_f16_e32 v4, v4, v18
	v_sub_f16_e32 v6, v6, v25
	v_sub_f16_e32 v0, v0, v16
	v_add_f16_e32 v2, v2, v19
	v_pack_b32_f16 v4, v4, v6
	v_pack_b32_f16 v0, v0, v2
	ds_write2_b32 v80, v4, v0 offset0:112 offset1:140
	v_sub_f16_e32 v0, v69, v72
	v_add_f16_e32 v2, v71, v70
	v_pack_b32_f16 v0, v0, v2
	ds_write_b32 v80, v0 offset:672
	v_add_f16_e32 v0, v7, v37
	v_add_f16_e32 v4, v20, v3
	;; [unrolled: 1-line block ×4, first 2 shown]
	v_sub_f16_e32 v3, v20, v3
	v_sub_f16_e32 v18, v21, v23
	v_add_f16_e32 v19, v31, v22
	v_sub_f16_e32 v20, v22, v31
	v_add_f16_e32 v21, v17, v5
	;; [unrolled: 2-line block ×3, first 2 shown]
	v_add_f16_e32 v22, v16, v4
	v_add_f16_e32 v17, v19, v17
	;; [unrolled: 1-line block ×3, first 2 shown]
	v_pack_b32_f16 v27, v27, v29
	v_sub_f16_e32 v2, v7, v37
	v_sub_f16_e32 v7, v30, v28
	v_add_f16_e32 v23, v1, v17
	v_add_f16_sdwa v1, v1, v22 dst_sel:DWORD dst_unused:UNUSED_PAD src0_sel:WORD_1 src1_sel:DWORD
	ds_write2_b32 v80, v26, v27 offset0:56 offset1:84
	v_fma_f16 v17, v17, s0, v23
	v_fma_f16 v22, v22, s0, v1
	v_pack_b32_f16 v1, v23, v1
	v_sub_f16_e32 v23, v0, v19
	v_sub_f16_e32 v25, v4, v21
	;; [unrolled: 1-line block ×6, first 2 shown]
	v_add_f16_e32 v26, v20, v7
	v_sub_f16_e32 v20, v2, v20
	v_add_f16_e32 v28, v5, v18
	v_sub_f16_e32 v5, v3, v5
	v_mul_f16_e32 v23, 0x3a52, v23
	v_mul_f16_e32 v25, 0x3a52, v25
	;; [unrolled: 1-line block ×4, first 2 shown]
	v_add_f16_e32 v26, v26, v2
	v_add_f16_e32 v28, v28, v3
	v_fma_f16 v30, v19, s6, v23
	v_fma_f16 v31, v21, s6, v25
	;; [unrolled: 1-line block ×4, first 2 shown]
	v_add_f16_e32 v30, v30, v17
	v_add_f16_e32 v31, v31, v22
	v_fma_f16 v32, v26, s2, v32
	v_fma_f16 v37, v28, s2, v37
	v_add_f16_e32 v38, v37, v30
	v_sub_f16_e32 v61, v31, v32
	v_pack_b32_f16 v38, v38, v61
	v_sub_f16_e32 v2, v7, v2
	v_sub_f16_e32 v3, v18, v3
	ds_write2_b32 v81, v1, v38 offset1:28
	v_sub_f16_e32 v0, v6, v0
	v_sub_f16_e32 v1, v16, v4
	v_mul_f16_e32 v4, 0x2b26, v19
	v_mul_f16_e32 v6, 0x2b26, v21
	v_fma_f16 v7, v2, s3, -v27
	v_mul_f16_e32 v2, 0x3b00, v2
	v_fma_f16 v16, v3, s3, -v29
	v_mul_f16_e32 v3, 0x3b00, v3
	v_fma_f16 v4, v0, s12, -v4
	v_fma_f16 v0, v0, s13, -v23
	v_fma_f16 v6, v1, s12, -v6
	;; [unrolled: 1-line block ×3, first 2 shown]
	v_fma_f16 v2, v20, s1, v2
	v_fma_f16 v3, v5, s1, v3
	v_add_f16_e32 v0, v0, v17
	v_add_f16_e32 v1, v1, v22
	v_fma_f16 v2, v26, s2, v2
	v_fma_f16 v3, v28, s2, v3
	v_add_f16_e32 v4, v4, v17
	v_add_f16_e32 v5, v6, v22
	v_fma_f16 v6, v26, s2, v7
	v_fma_f16 v7, v28, s2, v16
	v_add_f16_e32 v16, v3, v0
	v_sub_f16_e32 v17, v1, v2
	v_pack_b32_f16 v16, v16, v17
	v_sub_f16_e32 v17, v4, v7
	v_add_f16_e32 v18, v6, v5
	v_add_f16_e32 v4, v7, v4
	v_sub_f16_e32 v5, v5, v6
	v_sub_f16_e32 v0, v0, v3
	v_add_f16_e32 v1, v2, v1
	v_sub_f16_e32 v2, v30, v37
	v_add_f16_e32 v3, v32, v31
	v_pack_b32_f16 v4, v4, v5
	v_pack_b32_f16 v0, v0, v1
	;; [unrolled: 1-line block ×3, first 2 shown]
	ds_write2_b32 v81, v4, v0 offset0:112 offset1:140
	v_pack_b32_f16 v0, v2, v3
	ds_write2_b32 v81, v16, v17 offset0:56 offset1:84
	ds_write_b32 v81, v0 offset:672
	s_waitcnt lgkmcnt(0)
	s_barrier
	ds_read2_b32 v[0:1], v56 offset0:68 offset1:166
	ds_read2_b32 v[2:3], v48 offset0:136 offset1:234
	s_waitcnt lgkmcnt(1)
	v_lshrrev_b32_e32 v4, 16, v0
	v_mul_f16_sdwa v5, v12, v4 dst_sel:DWORD dst_unused:UNUSED_PAD src0_sel:WORD_1 src1_sel:DWORD
	v_fma_f16 v16, v12, v0, v5
	v_mul_f16_sdwa v0, v12, v0 dst_sel:DWORD dst_unused:UNUSED_PAD src0_sel:WORD_1 src1_sel:DWORD
	v_fma_f16 v12, v12, v4, -v0
	ds_read2_b32 v[4:5], v60 offset0:76 offset1:174
	s_waitcnt lgkmcnt(1)
	v_lshrrev_b32_e32 v6, 16, v2
	v_mul_f16_sdwa v0, v13, v2 dst_sel:DWORD dst_unused:UNUSED_PAD src0_sel:WORD_1 src1_sel:DWORD
	v_fma_f16 v17, v13, v6, -v0
	v_mul_f16_sdwa v0, v13, v6 dst_sel:DWORD dst_unused:UNUSED_PAD src0_sel:WORD_1 src1_sel:DWORD
	ds_read2_b32 v[6:7], v58 offset0:16 offset1:114
	v_fma_f16 v13, v13, v2, v0
	s_waitcnt lgkmcnt(1)
	v_lshrrev_b32_e32 v0, 16, v4
	v_mul_f16_sdwa v2, v14, v4 dst_sel:DWORD dst_unused:UNUSED_PAD src0_sel:WORD_1 src1_sel:DWORD
	v_fma_f16 v18, v14, v0, -v2
	v_mul_f16_sdwa v0, v14, v0 dst_sel:DWORD dst_unused:UNUSED_PAD src0_sel:WORD_1 src1_sel:DWORD
	v_fma_f16 v4, v14, v4, v0
	s_waitcnt lgkmcnt(0)
	v_lshrrev_b32_e32 v0, 16, v6
	v_mul_f16_sdwa v2, v15, v6 dst_sel:DWORD dst_unused:UNUSED_PAD src0_sel:WORD_1 src1_sel:DWORD
	v_fma_f16 v14, v15, v0, -v2
	v_mul_f16_sdwa v0, v15, v0 dst_sel:DWORD dst_unused:UNUSED_PAD src0_sel:WORD_1 src1_sel:DWORD
	v_fma_f16 v6, v15, v6, v0
	v_lshrrev_b32_e32 v0, 16, v1
	v_mul_f16_sdwa v2, v8, v0 dst_sel:DWORD dst_unused:UNUSED_PAD src0_sel:WORD_1 src1_sel:DWORD
	v_fma_f16 v15, v8, v1, v2
	v_mul_f16_sdwa v1, v8, v1 dst_sel:DWORD dst_unused:UNUSED_PAD src0_sel:WORD_1 src1_sel:DWORD
	v_fma_f16 v8, v8, v0, -v1
	v_lshrrev_b32_e32 v0, 16, v3
	v_mul_f16_sdwa v1, v9, v0 dst_sel:DWORD dst_unused:UNUSED_PAD src0_sel:WORD_1 src1_sel:DWORD
	v_fma_f16 v19, v9, v3, v1
	v_mul_f16_sdwa v1, v9, v3 dst_sel:DWORD dst_unused:UNUSED_PAD src0_sel:WORD_1 src1_sel:DWORD
	v_fma_f16 v9, v9, v0, -v1
	v_lshrrev_b32_e32 v0, 16, v5
	v_mul_f16_sdwa v1, v10, v0 dst_sel:DWORD dst_unused:UNUSED_PAD src0_sel:WORD_1 src1_sel:DWORD
	v_fma_f16 v20, v10, v5, v1
	v_mul_f16_sdwa v1, v10, v5 dst_sel:DWORD dst_unused:UNUSED_PAD src0_sel:WORD_1 src1_sel:DWORD
	v_lshrrev_b32_e32 v2, 16, v7
	v_fma_f16 v5, v10, v0, -v1
	ds_read2_b32 v[0:1], v49 offset0:84 offset1:182
	v_mul_f16_sdwa v3, v11, v2 dst_sel:DWORD dst_unused:UNUSED_PAD src0_sel:WORD_1 src1_sel:DWORD
	v_fma_f16 v10, v11, v7, v3
	v_mul_f16_sdwa v3, v11, v7 dst_sel:DWORD dst_unused:UNUSED_PAD src0_sel:WORD_1 src1_sel:DWORD
	v_fma_f16 v7, v11, v2, -v3
	ds_read2_b32 v[2:3], v43 offset0:152 offset1:250
	s_waitcnt lgkmcnt(1)
	v_lshrrev_b32_e32 v11, 16, v0
	v_mul_f16_sdwa v21, v35, v0 dst_sel:DWORD dst_unused:UNUSED_PAD src0_sel:WORD_1 src1_sel:DWORD
	v_fma_f16 v21, v35, v11, -v21
	v_mul_f16_sdwa v11, v35, v11 dst_sel:DWORD dst_unused:UNUSED_PAD src0_sel:WORD_1 src1_sel:DWORD
	v_fma_f16 v0, v35, v0, v11
	s_waitcnt lgkmcnt(0)
	v_lshrrev_b32_e32 v11, 16, v2
	v_mul_f16_sdwa v22, v36, v2 dst_sel:DWORD dst_unused:UNUSED_PAD src0_sel:WORD_1 src1_sel:DWORD
	v_fma_f16 v22, v36, v11, -v22
	v_mul_f16_sdwa v11, v36, v11 dst_sel:DWORD dst_unused:UNUSED_PAD src0_sel:WORD_1 src1_sel:DWORD
	v_fma_f16 v2, v36, v2, v11
	v_lshrrev_b32_e32 v11, 16, v1
	v_mul_f16_sdwa v23, v33, v11 dst_sel:DWORD dst_unused:UNUSED_PAD src0_sel:WORD_1 src1_sel:DWORD
	v_fma_f16 v23, v33, v1, v23
	v_mul_f16_sdwa v1, v33, v1 dst_sel:DWORD dst_unused:UNUSED_PAD src0_sel:WORD_1 src1_sel:DWORD
	v_fma_f16 v11, v33, v11, -v1
	v_lshrrev_b32_e32 v1, 16, v3
	v_mul_f16_sdwa v25, v34, v1 dst_sel:DWORD dst_unused:UNUSED_PAD src0_sel:WORD_1 src1_sel:DWORD
	v_fma_f16 v25, v34, v3, v25
	v_mul_f16_sdwa v3, v34, v3 dst_sel:DWORD dst_unused:UNUSED_PAD src0_sel:WORD_1 src1_sel:DWORD
	v_fma_f16 v3, v34, v1, -v3
	v_add_f16_e32 v1, v16, v2
	v_sub_f16_e32 v2, v16, v2
	v_add_f16_e32 v16, v12, v22
	v_sub_f16_e32 v12, v12, v22
	;; [unrolled: 2-line block ×7, first 2 shown]
	v_sub_f16_e32 v1, v1, v21
	v_sub_f16_e32 v22, v21, v22
	v_add_f16_e32 v18, v21, v18
	v_add_f16_e32 v21, v13, v16
	v_sub_f16_e32 v27, v13, v16
	v_sub_f16_e32 v16, v16, v6
	v_sub_f16_e32 v13, v6, v13
	v_add_f16_e32 v6, v6, v21
	v_add_f16_e32 v21, v4, v0
	v_sub_f16_e32 v28, v4, v0
	;; [unrolled: 5-line block ×3, first 2 shown]
	v_sub_f16_e32 v14, v12, v14
	v_sub_f16_e32 v17, v17, v12
	v_add_f16_e32 v12, v21, v12
	v_mul_f16_e32 v1, 0x3a52, v1
	v_mul_f16_e32 v21, 0x2b26, v22
	v_fma_f16 v22, v22, s6, v1
	v_fma_f16 v21, v26, s12, -v21
	v_fma_f16 v26, v26, s13, -v1
	v_mul_f16_e32 v1, 0x3a52, v16
	v_mul_f16_e32 v16, 0x2b26, v13
	v_fma_f16 v13, v13, s6, v1
	v_fma_f16 v16, v27, s12, -v16
	v_fma_f16 v27, v27, s13, -v1
	v_mul_f16_e32 v1, 0x3846, v28
	v_mul_f16_e32 v28, 0x3b00, v0
	v_fma_f16 v30, v0, s3, -v1
	v_fma_f16 v31, v4, s7, v1
	ds_read2_b32 v[0:1], v59 offset1:98
	v_fma_f16 v4, v4, s1, v28
	v_mul_f16_e32 v28, 0x3846, v29
	v_mul_f16_e32 v29, 0x3b00, v17
	v_fma_f16 v17, v17, s3, -v28
	v_fma_f16 v28, v14, s7, v28
	v_fma_f16 v14, v14, s1, v29
	s_waitcnt lgkmcnt(0)
	v_add_f16_e32 v29, v0, v18
	v_add_f16_sdwa v0, v0, v6 dst_sel:DWORD dst_unused:UNUSED_PAD src0_sel:WORD_1 src1_sel:DWORD
	v_fma_f16 v18, v18, s0, v29
	v_fma_f16 v6, v6, s0, v0
	v_add_f16_e32 v22, v22, v18
	v_add_f16_e32 v21, v21, v18
	;; [unrolled: 1-line block ×6, first 2 shown]
	v_fma_f16 v26, v2, s2, v31
	v_fma_f16 v27, v2, s2, v30
	;; [unrolled: 1-line block ×6, first 2 shown]
	v_sub_f16_e32 v14, v21, v17
	v_add_f16_e32 v17, v17, v21
	v_add_f16_e32 v21, v27, v16
	v_sub_f16_e32 v16, v16, v27
	v_add_f16_e32 v27, v12, v18
	v_sub_f16_e32 v12, v18, v12
	v_sub_f16_e32 v18, v6, v2
	v_add_f16_e32 v2, v2, v6
	v_add_f16_e32 v6, v4, v22
	v_sub_f16_e32 v4, v22, v4
	v_sub_f16_e32 v22, v13, v26
	v_add_f16_e32 v13, v26, v13
	v_add_f16_e32 v26, v15, v25
	v_sub_f16_e32 v15, v15, v25
	v_add_f16_e32 v25, v8, v3
	v_sub_f16_e32 v3, v8, v3
	;; [unrolled: 2-line block ×7, first 2 shown]
	v_sub_f16_e32 v26, v26, v11
	v_sub_f16_e32 v8, v11, v8
	v_add_f16_e32 v7, v11, v7
	v_add_f16_e32 v11, v23, v25
	v_sub_f16_e32 v30, v23, v25
	v_sub_f16_e32 v25, v25, v20
	;; [unrolled: 1-line block ×3, first 2 shown]
	v_mul_f16_e32 v26, 0x3a52, v26
	v_mul_f16_e32 v33, 0x2b26, v8
	v_add_f16_e32 v11, v20, v11
	v_add_f16_e32 v20, v10, v19
	v_sub_f16_e32 v31, v10, v19
	v_sub_f16_e32 v19, v19, v15
	v_fma_f16 v8, v8, s6, v26
	v_fma_f16 v33, v28, s12, -v33
	v_fma_f16 v26, v28, s13, -v26
	v_mul_f16_e32 v25, 0x3a52, v25
	v_mul_f16_e32 v28, 0x2b26, v23
	v_sub_f16_e32 v10, v15, v10
	v_add_f16_e32 v15, v20, v15
	v_add_f16_e32 v20, v5, v9
	v_sub_f16_e32 v32, v5, v9
	v_sub_f16_e32 v9, v9, v3
	v_fma_f16 v23, v23, s6, v25
	v_fma_f16 v28, v30, s12, -v28
	v_fma_f16 v25, v30, s13, -v25
	v_mul_f16_e32 v30, 0x3846, v31
	v_mul_f16_e32 v31, 0x3b00, v19
	v_sub_f16_e32 v5, v3, v5
	v_add_f16_e32 v3, v20, v3
	v_add_f16_e32 v20, v1, v7
	v_add_f16_sdwa v1, v1, v11 dst_sel:DWORD dst_unused:UNUSED_PAD src0_sel:WORD_1 src1_sel:DWORD
	v_fma_f16 v19, v19, s3, -v30
	v_fma_f16 v30, v10, s7, v30
	v_fma_f16 v10, v10, s1, v31
	v_mul_f16_e32 v31, 0x3846, v32
	v_mul_f16_e32 v32, 0x3b00, v9
	v_fma_f16 v9, v9, s3, -v31
	v_fma_f16 v31, v5, s7, v31
	v_fma_f16 v5, v5, s1, v32
	;; [unrolled: 1-line block ×4, first 2 shown]
	v_add_f16_e32 v8, v8, v7
	v_add_f16_e32 v32, v33, v7
	;; [unrolled: 1-line block ×6, first 2 shown]
	v_fma_f16 v25, v15, s2, v30
	v_fma_f16 v19, v15, s2, v19
	;; [unrolled: 1-line block ×6, first 2 shown]
	v_pack_b32_f16 v2, v12, v2
	v_add_f16_e32 v28, v19, v26
	v_sub_f16_e32 v19, v26, v19
	v_add_f16_e32 v26, v3, v7
	v_sub_f16_e32 v3, v7, v3
	v_sub_f16_e32 v7, v11, v10
	v_add_f16_e32 v10, v10, v11
	v_add_f16_e32 v11, v15, v8
	v_sub_f16_e32 v8, v8, v15
	v_sub_f16_e32 v15, v23, v25
	v_pack_b32_f16 v0, v29, v0
	v_pack_b32_f16 v16, v17, v16
	ds_write_b32 v59, v2 offset:3920
	v_pack_b32_f16 v2, v4, v13
	v_pack_b32_f16 v1, v20, v1
	;; [unrolled: 1-line block ×3, first 2 shown]
	ds_write_b32 v59, v16 offset:3136
	ds_write_b32 v59, v2 offset:4704
	ds_write2_b32 v59, v0, v1 offset1:98
	v_pack_b32_f16 v0, v11, v15
	v_sub_f16_e32 v5, v32, v9
	v_pack_b32_f16 v18, v27, v18
	ds_write2_b32 v56, v6, v0 offset0:68 offset1:166
	v_pack_b32_f16 v0, v26, v7
	v_add_f16_e32 v9, v9, v32
	v_pack_b32_f16 v14, v14, v21
	ds_write2_b32 v48, v18, v0 offset0:136 offset1:234
	v_pack_b32_f16 v0, v5, v28
	ds_write2_b32 v60, v14, v0 offset0:76 offset1:174
	v_pack_b32_f16 v0, v9, v19
	v_add_f16_e32 v23, v25, v23
	ds_write_b32 v59, v0 offset:3528
	v_pack_b32_f16 v0, v3, v10
	ds_write_b32 v59, v0 offset:4312
	v_pack_b32_f16 v0, v8, v23
	ds_write_b32 v59, v0 offset:5096
	s_waitcnt lgkmcnt(0)
	s_barrier
	ds_read2_b32 v[2:3], v59 offset1:98
	s_mov_b32 s2, 0x515a4f1d
	s_mov_b32 s3, 0x3f47e225
	v_mad_u64_u32 v[4:5], s[0:1], s10, v24, 0
	s_waitcnt lgkmcnt(0)
	v_lshrrev_b32_e32 v7, 16, v2
	v_mul_f16_sdwa v0, v57, v7 dst_sel:DWORD dst_unused:UNUSED_PAD src0_sel:WORD_1 src1_sel:DWORD
	v_fma_f16 v0, v57, v2, v0
	v_cvt_f32_f16_e32 v0, v0
	s_movk_i32 s6, 0x1ff
	v_mad_u64_u32 v[5:6], s[0:1], s11, v24, v[5:6]
	v_cvt_f64_f32_e32 v[0:1], v0
	s_movk_i32 s7, 0xffe
	v_mul_f16_sdwa v2, v57, v2 dst_sel:DWORD dst_unused:UNUSED_PAD src0_sel:WORD_1 src1_sel:DWORD
	v_fma_f16 v2, v57, v7, -v2
	v_mul_f64 v[0:1], v[0:1], s[2:3]
	v_cvt_f32_f16_e32 v7, v2
	v_mov_b32_e32 v2, 0x7c00
	s_movk_i32 s10, 0x40f
	s_mov_b32 s11, 0x8000
	v_lshlrev_b64 v[4:5], 2, v[4:5]
	v_and_or_b32 v0, v1, s6, v0
	v_cmp_ne_u32_e32 vcc, 0, v0
	v_cndmask_b32_e64 v0, 0, 1, vcc
	v_lshrrev_b32_e32 v6, 8, v1
	v_bfe_u32 v8, v1, 20, 11
	v_and_or_b32 v0, v6, s7, v0
	v_sub_u32_e32 v9, 0x3f1, v8
	v_or_b32_e32 v6, 0x1000, v0
	v_med3_i32 v9, v9, 0, 13
	v_lshrrev_b32_e32 v10, v9, v6
	v_lshlrev_b32_e32 v9, v9, v10
	v_cmp_ne_u32_e32 vcc, v9, v6
	v_cndmask_b32_e64 v6, 0, 1, vcc
	v_add_u32_e32 v8, 0xfffffc10, v8
	v_or_b32_e32 v6, v10, v6
	v_lshl_or_b32 v9, v8, 12, v0
	v_cmp_gt_i32_e32 vcc, 1, v8
	v_cndmask_b32_e32 v6, v9, v6, vcc
	v_and_b32_e32 v9, 7, v6
	v_cmp_lt_i32_e32 vcc, 5, v9
	v_cmp_eq_u32_e64 s[0:1], 3, v9
	v_lshrrev_b32_e32 v6, 2, v6
	s_or_b64 vcc, s[0:1], vcc
	v_addc_co_u32_e32 v9, vcc, 0, v6, vcc
	v_cvt_f64_f32_e32 v[6:7], v7
	v_cmp_gt_i32_e32 vcc, 31, v8
	v_cndmask_b32_e32 v9, v2, v9, vcc
	v_cmp_ne_u32_e32 vcc, 0, v0
	v_mul_f64 v[6:7], v[6:7], s[2:3]
	v_cndmask_b32_e64 v0, 0, 1, vcc
	v_lshl_or_b32 v0, v0, 9, v2
	v_cmp_eq_u32_e32 vcc, s10, v8
	v_cndmask_b32_e32 v0, v9, v0, vcc
	v_lshrrev_b32_e32 v1, 16, v1
	v_and_or_b32 v10, v1, s11, v0
	v_and_b32_e32 v10, 0xffff, v10
	v_and_or_b32 v0, v7, s6, v6
	v_cmp_ne_u32_e32 vcc, 0, v0
	v_cndmask_b32_e64 v0, 0, 1, vcc
	v_lshrrev_b32_e32 v1, 8, v7
	v_bfe_u32 v6, v7, 20, 11
	v_and_or_b32 v0, v1, s7, v0
	v_sub_u32_e32 v8, 0x3f1, v6
	v_or_b32_e32 v1, 0x1000, v0
	v_med3_i32 v8, v8, 0, 13
	v_lshrrev_b32_e32 v9, v8, v1
	v_lshlrev_b32_e32 v8, v8, v9
	v_cmp_ne_u32_e32 vcc, v8, v1
	v_cndmask_b32_e64 v1, 0, 1, vcc
	v_add_u32_e32 v6, 0xfffffc10, v6
	v_or_b32_e32 v1, v9, v1
	v_lshl_or_b32 v8, v6, 12, v0
	v_cmp_gt_i32_e32 vcc, 1, v6
	v_cndmask_b32_e32 v1, v8, v1, vcc
	v_and_b32_e32 v8, 7, v1
	v_cmp_lt_i32_e32 vcc, 5, v8
	v_cmp_eq_u32_e64 s[0:1], 3, v8
	v_lshrrev_b32_e32 v1, 2, v1
	s_or_b64 vcc, s[0:1], vcc
	v_addc_co_u32_e32 v1, vcc, 0, v1, vcc
	v_cmp_gt_i32_e32 vcc, 31, v6
	v_cndmask_b32_e32 v1, v2, v1, vcc
	v_cmp_ne_u32_e32 vcc, 0, v0
	v_cndmask_b32_e64 v0, 0, 1, vcc
	v_lshl_or_b32 v0, v0, 9, v2
	v_cmp_eq_u32_e32 vcc, s10, v6
	v_mad_u64_u32 v[8:9], s[0:1], s8, v55, 0
	v_cndmask_b32_e32 v11, v1, v0, vcc
	ds_read2_b32 v[0:1], v60 offset0:76 offset1:174
	v_mov_b32_e32 v6, v9
	v_lshrrev_b32_e32 v12, 16, v7
	v_mad_u64_u32 v[6:7], s[0:1], s9, v55, v[6:7]
	s_waitcnt lgkmcnt(0)
	v_lshrrev_b32_e32 v13, 16, v1
	v_mul_f16_sdwa v7, v54, v13 dst_sel:DWORD dst_unused:UNUSED_PAD src0_sel:WORD_1 src1_sel:DWORD
	v_fma_f16 v7, v54, v1, v7
	v_cvt_f32_f16_e32 v7, v7
	v_mov_b32_e32 v9, v6
	v_and_or_b32 v11, v12, s11, v11
	v_lshl_or_b32 v10, v11, 16, v10
	v_cvt_f64_f32_e32 v[6:7], v7
	v_mov_b32_e32 v11, s5
	v_add_co_u32_e32 v12, vcc, s4, v4
	v_mul_f64 v[6:7], v[6:7], s[2:3]
	v_addc_co_u32_e32 v11, vcc, v11, v5, vcc
	v_lshlrev_b64 v[4:5], 2, v[8:9]
	v_mul_f16_sdwa v1, v54, v1 dst_sel:DWORD dst_unused:UNUSED_PAD src0_sel:WORD_1 src1_sel:DWORD
	v_add_co_u32_e32 v4, vcc, v12, v4
	v_addc_co_u32_e32 v5, vcc, v11, v5, vcc
	v_and_or_b32 v6, v7, s6, v6
	v_cmp_ne_u32_e32 vcc, 0, v6
	v_cndmask_b32_e64 v6, 0, 1, vcc
	v_lshrrev_b32_e32 v8, 8, v7
	v_bfe_u32 v9, v7, 20, 11
	global_store_dword v[4:5], v10, off
	v_and_or_b32 v6, v8, s7, v6
	v_sub_u32_e32 v10, 0x3f1, v9
	v_or_b32_e32 v8, 0x1000, v6
	v_med3_i32 v10, v10, 0, 13
	v_lshrrev_b32_e32 v11, v10, v8
	v_lshlrev_b32_e32 v10, v10, v11
	v_cmp_ne_u32_e32 vcc, v10, v8
	v_fma_f16 v1, v54, v13, -v1
	v_cndmask_b32_e64 v8, 0, 1, vcc
	v_add_u32_e32 v10, 0xfffffc10, v9
	v_cvt_f32_f16_e32 v1, v1
	v_or_b32_e32 v8, v11, v8
	v_lshl_or_b32 v9, v10, 12, v6
	v_cmp_gt_i32_e32 vcc, 1, v10
	v_cndmask_b32_e32 v8, v9, v8, vcc
	v_and_b32_e32 v9, 7, v8
	v_cmp_lt_i32_e32 vcc, 5, v9
	v_cmp_eq_u32_e64 s[0:1], 3, v9
	v_lshrrev_b32_e32 v11, 2, v8
	v_cvt_f64_f32_e32 v[8:9], v1
	s_or_b64 vcc, s[0:1], vcc
	v_addc_co_u32_e32 v1, vcc, 0, v11, vcc
	v_mul_f64 v[8:9], v[8:9], s[2:3]
	v_cmp_gt_i32_e32 vcc, 31, v10
	v_cndmask_b32_e32 v1, v2, v1, vcc
	v_cmp_ne_u32_e32 vcc, 0, v6
	v_cndmask_b32_e64 v6, 0, 1, vcc
	v_lshl_or_b32 v6, v6, 9, v2
	v_cmp_eq_u32_e32 vcc, s10, v10
	v_cndmask_b32_e32 v1, v1, v6, vcc
	v_lshrrev_b32_e32 v6, 16, v7
	v_and_or_b32 v1, v6, s11, v1
	v_and_or_b32 v6, v9, s6, v8
	v_cmp_ne_u32_e32 vcc, 0, v6
	v_cndmask_b32_e64 v6, 0, 1, vcc
	v_lshrrev_b32_e32 v7, 8, v9
	v_bfe_u32 v8, v9, 20, 11
	v_and_or_b32 v6, v7, s7, v6
	v_sub_u32_e32 v10, 0x3f1, v8
	v_or_b32_e32 v7, 0x1000, v6
	v_med3_i32 v10, v10, 0, 13
	v_lshrrev_b32_e32 v11, v10, v7
	v_lshlrev_b32_e32 v10, v10, v11
	v_cmp_ne_u32_e32 vcc, v10, v7
	v_cndmask_b32_e64 v7, 0, 1, vcc
	v_add_u32_e32 v8, 0xfffffc10, v8
	v_or_b32_e32 v7, v11, v7
	v_lshl_or_b32 v10, v8, 12, v6
	v_cmp_gt_i32_e32 vcc, 1, v8
	v_cndmask_b32_e32 v7, v10, v7, vcc
	v_and_b32_e32 v10, 7, v7
	v_cmp_lt_i32_e32 vcc, 5, v10
	v_cmp_eq_u32_e64 s[0:1], 3, v10
	v_lshrrev_b32_e32 v7, 2, v7
	s_or_b64 vcc, s[0:1], vcc
	v_addc_co_u32_e32 v7, vcc, 0, v7, vcc
	v_cmp_gt_i32_e32 vcc, 31, v8
	v_cndmask_b32_e32 v7, v2, v7, vcc
	v_cmp_ne_u32_e32 vcc, 0, v6
	v_cndmask_b32_e64 v6, 0, 1, vcc
	v_lshl_or_b32 v6, v6, 9, v2
	v_cmp_eq_u32_e32 vcc, s10, v8
	v_lshrrev_b32_e32 v8, 16, v3
	v_cndmask_b32_e32 v6, v7, v6, vcc
	v_lshrrev_b32_e32 v7, 16, v9
	v_mul_f16_sdwa v9, v53, v8 dst_sel:DWORD dst_unused:UNUSED_PAD src0_sel:WORD_1 src1_sel:DWORD
	v_fma_f16 v9, v53, v3, v9
	v_cvt_f32_f16_e32 v9, v9
	v_and_or_b32 v6, v7, s11, v6
	v_and_b32_e32 v1, 0xffff, v1
	v_lshl_or_b32 v1, v6, 16, v1
	v_cvt_f64_f32_e32 v[6:7], v9
	s_mul_i32 s0, s9, 0xab8
	s_mul_hi_u32 s4, s8, 0xab8
	s_add_i32 s4, s4, s0
	v_mul_f64 v[6:7], v[6:7], s[2:3]
	s_mul_i32 s5, s8, 0xab8
	v_mov_b32_e32 v9, s4
	v_add_co_u32_e32 v4, vcc, s5, v4
	v_addc_co_u32_e32 v5, vcc, v5, v9, vcc
	global_store_dword v[4:5], v1, off
	v_and_or_b32 v1, v7, s6, v6
	v_cmp_ne_u32_e32 vcc, 0, v1
	v_cndmask_b32_e64 v1, 0, 1, vcc
	v_lshrrev_b32_e32 v6, 8, v7
	v_bfe_u32 v9, v7, 20, 11
	v_and_or_b32 v1, v6, s7, v1
	v_sub_u32_e32 v10, 0x3f1, v9
	v_or_b32_e32 v6, 0x1000, v1
	v_med3_i32 v10, v10, 0, 13
	v_lshrrev_b32_e32 v11, v10, v6
	v_lshlrev_b32_e32 v10, v10, v11
	v_mul_f16_sdwa v3, v53, v3 dst_sel:DWORD dst_unused:UNUSED_PAD src0_sel:WORD_1 src1_sel:DWORD
	v_cmp_ne_u32_e32 vcc, v10, v6
	v_fma_f16 v3, v53, v8, -v3
	v_cndmask_b32_e64 v6, 0, 1, vcc
	v_add_u32_e32 v10, 0xfffffc10, v9
	v_cvt_f32_f16_e32 v3, v3
	v_or_b32_e32 v6, v11, v6
	v_lshl_or_b32 v9, v10, 12, v1
	v_cmp_gt_i32_e32 vcc, 1, v10
	v_cndmask_b32_e32 v6, v9, v6, vcc
	v_and_b32_e32 v9, 7, v6
	v_cmp_lt_i32_e32 vcc, 5, v9
	v_cmp_eq_u32_e64 s[0:1], 3, v9
	v_cvt_f64_f32_e32 v[8:9], v3
	v_lshrrev_b32_e32 v6, 2, v6
	s_or_b64 vcc, s[0:1], vcc
	v_addc_co_u32_e32 v3, vcc, 0, v6, vcc
	v_mul_f64 v[8:9], v[8:9], s[2:3]
	v_cmp_gt_i32_e32 vcc, 31, v10
	v_cndmask_b32_e32 v3, v2, v3, vcc
	v_cmp_ne_u32_e32 vcc, 0, v1
	v_cndmask_b32_e64 v1, 0, 1, vcc
	v_lshl_or_b32 v1, v1, 9, v2
	v_cmp_eq_u32_e32 vcc, s10, v10
	v_cndmask_b32_e32 v1, v3, v1, vcc
	v_lshrrev_b32_e32 v3, 16, v7
	v_and_or_b32 v1, v3, s11, v1
	v_and_or_b32 v3, v9, s6, v8
	v_cmp_ne_u32_e32 vcc, 0, v3
	v_cndmask_b32_e64 v3, 0, 1, vcc
	v_lshrrev_b32_e32 v6, 8, v9
	v_bfe_u32 v7, v9, 20, 11
	v_and_or_b32 v3, v6, s7, v3
	v_sub_u32_e32 v8, 0x3f1, v7
	v_or_b32_e32 v6, 0x1000, v3
	v_med3_i32 v8, v8, 0, 13
	v_lshrrev_b32_e32 v10, v8, v6
	v_lshlrev_b32_e32 v8, v8, v10
	v_cmp_ne_u32_e32 vcc, v8, v6
	v_cndmask_b32_e64 v6, 0, 1, vcc
	v_add_u32_e32 v8, 0xfffffc10, v7
	v_or_b32_e32 v6, v10, v6
	v_lshl_or_b32 v7, v8, 12, v3
	v_cmp_gt_i32_e32 vcc, 1, v8
	v_cndmask_b32_e32 v6, v7, v6, vcc
	v_and_b32_e32 v7, 7, v6
	v_cmp_lt_i32_e32 vcc, 5, v7
	v_cmp_eq_u32_e64 s[0:1], 3, v7
	v_lshrrev_b32_e32 v6, 2, v6
	s_or_b64 vcc, s[0:1], vcc
	v_addc_co_u32_e32 v6, vcc, 0, v6, vcc
	v_cmp_gt_i32_e32 vcc, 31, v8
	v_cndmask_b32_e32 v10, v2, v6, vcc
	ds_read2_b32 v[6:7], v58 offset0:16 offset1:114
	v_cmp_ne_u32_e32 vcc, 0, v3
	v_cndmask_b32_e64 v3, 0, 1, vcc
	v_lshl_or_b32 v3, v3, 9, v2
	v_cmp_eq_u32_e32 vcc, s10, v8
	v_cndmask_b32_e32 v3, v10, v3, vcc
	v_lshrrev_b32_e32 v8, 16, v9
	s_waitcnt lgkmcnt(0)
	v_lshrrev_b32_e32 v10, 16, v6
	v_and_or_b32 v3, v8, s11, v3
	v_mul_f16_sdwa v8, v52, v10 dst_sel:DWORD dst_unused:UNUSED_PAD src0_sel:WORD_1 src1_sel:DWORD
	v_fma_f16 v8, v52, v6, v8
	v_cvt_f32_f16_e32 v8, v8
	s_mul_hi_u32 s1, s8, 0xfffff6d0
	s_mul_i32 s0, s9, 0xfffff6d0
	s_sub_i32 s9, s1, s8
	v_cvt_f64_f32_e32 v[8:9], v8
	v_and_b32_e32 v1, 0xffff, v1
	s_add_i32 s9, s9, s0
	s_mulk_i32 s8, 0xf6d0
	v_mul_f64 v[8:9], v[8:9], s[2:3]
	v_lshl_or_b32 v1, v3, 16, v1
	v_mov_b32_e32 v11, s9
	v_add_co_u32_e32 v3, vcc, s8, v4
	v_addc_co_u32_e32 v4, vcc, v5, v11, vcc
	global_store_dword v[3:4], v1, off
	v_and_or_b32 v1, v9, s6, v8
	v_cmp_ne_u32_e32 vcc, 0, v1
	v_cndmask_b32_e64 v1, 0, 1, vcc
	v_lshrrev_b32_e32 v5, 8, v9
	v_bfe_u32 v8, v9, 20, 11
	v_and_or_b32 v1, v5, s7, v1
	v_sub_u32_e32 v11, 0x3f1, v8
	v_or_b32_e32 v5, 0x1000, v1
	v_med3_i32 v11, v11, 0, 13
	v_lshrrev_b32_e32 v12, v11, v5
	v_mul_f16_sdwa v6, v52, v6 dst_sel:DWORD dst_unused:UNUSED_PAD src0_sel:WORD_1 src1_sel:DWORD
	v_lshlrev_b32_e32 v11, v11, v12
	v_fma_f16 v6, v52, v10, -v6
	v_cmp_ne_u32_e32 vcc, v11, v5
	v_cvt_f32_f16_e32 v6, v6
	v_cndmask_b32_e64 v5, 0, 1, vcc
	v_add_u32_e32 v8, 0xfffffc10, v8
	v_or_b32_e32 v5, v12, v5
	v_lshl_or_b32 v11, v8, 12, v1
	v_cmp_gt_i32_e32 vcc, 1, v8
	v_cndmask_b32_e32 v5, v11, v5, vcc
	v_and_b32_e32 v11, 7, v5
	v_lshrrev_b32_e32 v10, 2, v5
	v_cvt_f64_f32_e32 v[5:6], v6
	v_cmp_lt_i32_e32 vcc, 5, v11
	v_cmp_eq_u32_e64 s[0:1], 3, v11
	s_or_b64 vcc, s[0:1], vcc
	v_mul_f64 v[5:6], v[5:6], s[2:3]
	v_addc_co_u32_e32 v10, vcc, 0, v10, vcc
	v_cmp_gt_i32_e32 vcc, 31, v8
	v_cndmask_b32_e32 v10, v2, v10, vcc
	v_cmp_ne_u32_e32 vcc, 0, v1
	v_cndmask_b32_e64 v1, 0, 1, vcc
	v_lshl_or_b32 v1, v1, 9, v2
	v_cmp_eq_u32_e32 vcc, s10, v8
	v_and_or_b32 v5, v6, s6, v5
	v_cndmask_b32_e32 v1, v10, v1, vcc
	v_lshrrev_b32_e32 v8, 16, v9
	v_cmp_ne_u32_e32 vcc, 0, v5
	v_and_or_b32 v1, v8, s11, v1
	v_cndmask_b32_e64 v5, 0, 1, vcc
	v_lshrrev_b32_e32 v8, 8, v6
	v_bfe_u32 v9, v6, 20, 11
	v_and_or_b32 v5, v8, s7, v5
	v_sub_u32_e32 v10, 0x3f1, v9
	v_or_b32_e32 v8, 0x1000, v5
	v_med3_i32 v10, v10, 0, 13
	v_lshrrev_b32_e32 v11, v10, v8
	v_lshlrev_b32_e32 v10, v10, v11
	v_cmp_ne_u32_e32 vcc, v10, v8
	v_cndmask_b32_e64 v8, 0, 1, vcc
	v_add_u32_e32 v10, 0xfffffc10, v9
	v_or_b32_e32 v8, v11, v8
	v_lshl_or_b32 v9, v10, 12, v5
	v_cmp_gt_i32_e32 vcc, 1, v10
	v_cndmask_b32_e32 v8, v9, v8, vcc
	v_and_b32_e32 v9, 7, v8
	v_cmp_lt_i32_e32 vcc, 5, v9
	v_cmp_eq_u32_e64 s[0:1], 3, v9
	v_lshrrev_b32_e32 v8, 2, v8
	s_or_b64 vcc, s[0:1], vcc
	v_addc_co_u32_e32 v11, vcc, 0, v8, vcc
	ds_read2_b32 v[8:9], v56 offset0:68 offset1:166
	v_cmp_gt_i32_e32 vcc, 31, v10
	v_cndmask_b32_e32 v11, v2, v11, vcc
	v_cmp_ne_u32_e32 vcc, 0, v5
	v_cndmask_b32_e64 v5, 0, 1, vcc
	s_waitcnt lgkmcnt(0)
	v_lshrrev_b32_e32 v12, 16, v8
	v_mul_f16_sdwa v13, v50, v12 dst_sel:DWORD dst_unused:UNUSED_PAD src0_sel:WORD_1 src1_sel:DWORD
	v_fma_f16 v13, v50, v8, v13
	v_cvt_f32_f16_e32 v13, v13
	v_lshl_or_b32 v5, v5, 9, v2
	v_cmp_eq_u32_e32 vcc, s10, v10
	v_cndmask_b32_e32 v5, v11, v5, vcc
	v_cvt_f64_f32_e32 v[10:11], v13
	v_lshrrev_b32_e32 v6, 16, v6
	v_and_or_b32 v13, v6, s11, v5
	v_and_b32_e32 v1, 0xffff, v1
	v_mul_f64 v[5:6], v[10:11], s[2:3]
	v_mov_b32_e32 v10, s4
	v_add_co_u32_e32 v3, vcc, s5, v3
	v_lshl_or_b32 v1, v13, 16, v1
	v_addc_co_u32_e32 v4, vcc, v4, v10, vcc
	global_store_dword v[3:4], v1, off
	v_and_or_b32 v1, v6, s6, v5
	v_cmp_ne_u32_e32 vcc, 0, v1
	v_cndmask_b32_e64 v1, 0, 1, vcc
	v_lshrrev_b32_e32 v5, 8, v6
	v_bfe_u32 v10, v6, 20, 11
	v_and_or_b32 v1, v5, s7, v1
	v_sub_u32_e32 v11, 0x3f1, v10
	v_or_b32_e32 v5, 0x1000, v1
	v_med3_i32 v11, v11, 0, 13
	v_lshrrev_b32_e32 v13, v11, v5
	v_lshlrev_b32_e32 v11, v11, v13
	v_cmp_ne_u32_e32 vcc, v11, v5
	v_mul_f16_sdwa v8, v50, v8 dst_sel:DWORD dst_unused:UNUSED_PAD src0_sel:WORD_1 src1_sel:DWORD
	v_cndmask_b32_e64 v5, 0, 1, vcc
	v_fma_f16 v8, v50, v12, -v8
	v_or_b32_e32 v5, v13, v5
	v_add_u32_e32 v13, 0xfffffc10, v10
	v_cvt_f32_f16_e32 v8, v8
	v_lshl_or_b32 v10, v13, 12, v1
	v_cmp_gt_i32_e32 vcc, 1, v13
	v_cndmask_b32_e32 v5, v10, v5, vcc
	v_and_b32_e32 v10, 7, v5
	v_cmp_lt_i32_e32 vcc, 5, v10
	v_cmp_eq_u32_e64 s[0:1], 3, v10
	v_cvt_f64_f32_e32 v[10:11], v8
	v_lshrrev_b32_e32 v5, 2, v5
	s_or_b64 vcc, s[0:1], vcc
	v_addc_co_u32_e32 v5, vcc, 0, v5, vcc
	v_mul_f64 v[10:11], v[10:11], s[2:3]
	v_cmp_gt_i32_e32 vcc, 31, v13
	v_cndmask_b32_e32 v5, v2, v5, vcc
	v_cmp_ne_u32_e32 vcc, 0, v1
	v_cndmask_b32_e64 v1, 0, 1, vcc
	v_lshl_or_b32 v1, v1, 9, v2
	v_cmp_eq_u32_e32 vcc, s10, v13
	v_cndmask_b32_e32 v1, v5, v1, vcc
	v_lshrrev_b32_e32 v5, 16, v6
	v_and_or_b32 v1, v5, s11, v1
	v_and_or_b32 v5, v11, s6, v10
	v_cmp_ne_u32_e32 vcc, 0, v5
	v_cndmask_b32_e64 v5, 0, 1, vcc
	v_lshrrev_b32_e32 v6, 8, v11
	v_bfe_u32 v8, v11, 20, 11
	v_and_or_b32 v5, v6, s7, v5
	v_sub_u32_e32 v10, 0x3f1, v8
	v_or_b32_e32 v6, 0x1000, v5
	v_med3_i32 v10, v10, 0, 13
	v_lshrrev_b32_e32 v12, v10, v6
	v_lshlrev_b32_e32 v10, v10, v12
	v_cmp_ne_u32_e32 vcc, v10, v6
	v_cndmask_b32_e64 v6, 0, 1, vcc
	v_add_u32_e32 v8, 0xfffffc10, v8
	v_or_b32_e32 v6, v12, v6
	v_lshl_or_b32 v10, v8, 12, v5
	v_cmp_gt_i32_e32 vcc, 1, v8
	v_cndmask_b32_e32 v6, v10, v6, vcc
	v_and_b32_e32 v10, 7, v6
	v_cmp_lt_i32_e32 vcc, 5, v10
	v_cmp_eq_u32_e64 s[0:1], 3, v10
	v_lshrrev_b32_e32 v10, 16, v7
	v_lshrrev_b32_e32 v6, 2, v6
	s_or_b64 vcc, s[0:1], vcc
	v_mul_f16_sdwa v12, v51, v10 dst_sel:DWORD dst_unused:UNUSED_PAD src0_sel:WORD_1 src1_sel:DWORD
	v_addc_co_u32_e32 v6, vcc, 0, v6, vcc
	v_fma_f16 v12, v51, v7, v12
	v_cmp_gt_i32_e32 vcc, 31, v8
	v_cvt_f32_f16_e32 v12, v12
	v_cndmask_b32_e32 v6, v2, v6, vcc
	v_cmp_ne_u32_e32 vcc, 0, v5
	v_cndmask_b32_e64 v5, 0, 1, vcc
	v_lshl_or_b32 v5, v5, 9, v2
	v_cmp_eq_u32_e32 vcc, s10, v8
	v_cndmask_b32_e32 v8, v6, v5, vcc
	v_cvt_f64_f32_e32 v[5:6], v12
	v_lshrrev_b32_e32 v11, 16, v11
	v_and_or_b32 v8, v11, s11, v8
	v_and_b32_e32 v1, 0xffff, v1
	v_mul_f64 v[5:6], v[5:6], s[2:3]
	v_lshl_or_b32 v1, v8, 16, v1
	v_mov_b32_e32 v8, s9
	v_add_co_u32_e32 v3, vcc, s8, v3
	v_addc_co_u32_e32 v4, vcc, v4, v8, vcc
	global_store_dword v[3:4], v1, off
	v_and_or_b32 v1, v6, s6, v5
	v_cmp_ne_u32_e32 vcc, 0, v1
	v_cndmask_b32_e64 v1, 0, 1, vcc
	v_lshrrev_b32_e32 v5, 8, v6
	v_bfe_u32 v8, v6, 20, 11
	v_and_or_b32 v1, v5, s7, v1
	v_sub_u32_e32 v11, 0x3f1, v8
	v_or_b32_e32 v5, 0x1000, v1
	v_med3_i32 v11, v11, 0, 13
	v_lshrrev_b32_e32 v12, v11, v5
	v_lshlrev_b32_e32 v11, v11, v12
	v_mul_f16_sdwa v7, v51, v7 dst_sel:DWORD dst_unused:UNUSED_PAD src0_sel:WORD_1 src1_sel:DWORD
	v_cmp_ne_u32_e32 vcc, v11, v5
	v_fma_f16 v7, v51, v10, -v7
	v_cndmask_b32_e64 v5, 0, 1, vcc
	v_add_u32_e32 v11, 0xfffffc10, v8
	v_cvt_f32_f16_e32 v7, v7
	v_or_b32_e32 v5, v12, v5
	v_lshl_or_b32 v8, v11, 12, v1
	v_cmp_gt_i32_e32 vcc, 1, v11
	v_cndmask_b32_e32 v5, v8, v5, vcc
	v_and_b32_e32 v8, 7, v5
	v_cmp_lt_i32_e32 vcc, 5, v8
	v_cmp_eq_u32_e64 s[0:1], 3, v8
	v_cvt_f64_f32_e32 v[7:8], v7
	v_lshrrev_b32_e32 v5, 2, v5
	s_or_b64 vcc, s[0:1], vcc
	v_addc_co_u32_e32 v5, vcc, 0, v5, vcc
	v_mul_f64 v[7:8], v[7:8], s[2:3]
	v_cmp_gt_i32_e32 vcc, 31, v11
	v_cndmask_b32_e32 v5, v2, v5, vcc
	v_cmp_ne_u32_e32 vcc, 0, v1
	v_cndmask_b32_e64 v1, 0, 1, vcc
	v_lshl_or_b32 v1, v1, 9, v2
	v_cmp_eq_u32_e32 vcc, s10, v11
	v_cndmask_b32_e32 v1, v5, v1, vcc
	v_lshrrev_b32_e32 v5, 16, v6
	v_and_or_b32 v1, v5, s11, v1
	v_and_or_b32 v5, v8, s6, v7
	v_cmp_ne_u32_e32 vcc, 0, v5
	v_cndmask_b32_e64 v5, 0, 1, vcc
	v_lshrrev_b32_e32 v6, 8, v8
	v_bfe_u32 v7, v8, 20, 11
	v_and_or_b32 v5, v6, s7, v5
	v_sub_u32_e32 v10, 0x3f1, v7
	v_or_b32_e32 v6, 0x1000, v5
	v_med3_i32 v10, v10, 0, 13
	v_lshrrev_b32_e32 v11, v10, v6
	v_lshlrev_b32_e32 v10, v10, v11
	v_cmp_ne_u32_e32 vcc, v10, v6
	v_cndmask_b32_e64 v6, 0, 1, vcc
	v_add_u32_e32 v7, 0xfffffc10, v7
	v_or_b32_e32 v6, v11, v6
	v_lshl_or_b32 v10, v7, 12, v5
	v_cmp_gt_i32_e32 vcc, 1, v7
	v_cndmask_b32_e32 v6, v10, v6, vcc
	v_and_b32_e32 v10, 7, v6
	v_cmp_lt_i32_e32 vcc, 5, v10
	v_cmp_eq_u32_e64 s[0:1], 3, v10
	v_lshrrev_b32_e32 v10, 16, v9
	v_lshrrev_b32_e32 v6, 2, v6
	s_or_b64 vcc, s[0:1], vcc
	v_mul_f16_sdwa v11, v46, v10 dst_sel:DWORD dst_unused:UNUSED_PAD src0_sel:WORD_1 src1_sel:DWORD
	v_addc_co_u32_e32 v6, vcc, 0, v6, vcc
	v_fma_f16 v11, v46, v9, v11
	v_cmp_gt_i32_e32 vcc, 31, v7
	v_cvt_f32_f16_e32 v11, v11
	v_cndmask_b32_e32 v6, v2, v6, vcc
	v_cmp_ne_u32_e32 vcc, 0, v5
	v_cndmask_b32_e64 v5, 0, 1, vcc
	v_lshl_or_b32 v5, v5, 9, v2
	v_cmp_eq_u32_e32 vcc, s10, v7
	v_cndmask_b32_e32 v7, v6, v5, vcc
	v_cvt_f64_f32_e32 v[5:6], v11
	v_lshrrev_b32_e32 v8, 16, v8
	v_and_or_b32 v7, v8, s11, v7
	v_and_b32_e32 v1, 0xffff, v1
	v_mul_f64 v[5:6], v[5:6], s[2:3]
	v_lshl_or_b32 v1, v7, 16, v1
	v_mov_b32_e32 v7, s4
	v_add_co_u32_e32 v3, vcc, s5, v3
	v_addc_co_u32_e32 v4, vcc, v4, v7, vcc
	global_store_dword v[3:4], v1, off
	v_and_or_b32 v1, v6, s6, v5
	v_cmp_ne_u32_e32 vcc, 0, v1
	v_cndmask_b32_e64 v1, 0, 1, vcc
	v_lshrrev_b32_e32 v5, 8, v6
	v_bfe_u32 v7, v6, 20, 11
	v_and_or_b32 v1, v5, s7, v1
	v_sub_u32_e32 v8, 0x3f1, v7
	v_or_b32_e32 v5, 0x1000, v1
	v_med3_i32 v8, v8, 0, 13
	v_lshrrev_b32_e32 v11, v8, v5
	v_lshlrev_b32_e32 v8, v8, v11
	v_cmp_ne_u32_e32 vcc, v8, v5
	v_mul_f16_sdwa v8, v46, v9 dst_sel:DWORD dst_unused:UNUSED_PAD src0_sel:WORD_1 src1_sel:DWORD
	v_cndmask_b32_e64 v5, 0, 1, vcc
	v_fma_f16 v8, v46, v10, -v8
	v_or_b32_e32 v5, v11, v5
	v_add_u32_e32 v11, 0xfffffc10, v7
	v_cvt_f32_f16_e32 v8, v8
	v_lshl_or_b32 v7, v11, 12, v1
	v_cmp_gt_i32_e32 vcc, 1, v11
	v_cndmask_b32_e32 v5, v7, v5, vcc
	v_and_b32_e32 v7, 7, v5
	v_cmp_lt_i32_e32 vcc, 5, v7
	v_cmp_eq_u32_e64 s[0:1], 3, v7
	v_cvt_f64_f32_e32 v[7:8], v8
	v_lshrrev_b32_e32 v5, 2, v5
	s_or_b64 vcc, s[0:1], vcc
	v_addc_co_u32_e32 v5, vcc, 0, v5, vcc
	v_mul_f64 v[7:8], v[7:8], s[2:3]
	v_cmp_gt_i32_e32 vcc, 31, v11
	v_cndmask_b32_e32 v5, v2, v5, vcc
	v_cmp_ne_u32_e32 vcc, 0, v1
	v_cndmask_b32_e64 v1, 0, 1, vcc
	v_lshl_or_b32 v1, v1, 9, v2
	v_cmp_eq_u32_e32 vcc, s10, v11
	v_cndmask_b32_e32 v1, v5, v1, vcc
	v_lshrrev_b32_e32 v5, 16, v6
	v_and_or_b32 v1, v5, s11, v1
	v_and_or_b32 v5, v8, s6, v7
	v_cmp_ne_u32_e32 vcc, 0, v5
	v_cndmask_b32_e64 v5, 0, 1, vcc
	v_lshrrev_b32_e32 v6, 8, v8
	v_and_or_b32 v7, v6, s7, v5
	v_bfe_u32 v6, v8, 20, 11
	v_sub_u32_e32 v9, 0x3f1, v6
	v_or_b32_e32 v5, 0x1000, v7
	v_med3_i32 v9, v9, 0, 13
	v_lshrrev_b32_e32 v10, v9, v5
	v_lshlrev_b32_e32 v9, v9, v10
	v_cmp_ne_u32_e32 vcc, v9, v5
	v_cndmask_b32_e64 v5, 0, 1, vcc
	v_add_u32_e32 v9, 0xfffffc10, v6
	v_or_b32_e32 v5, v10, v5
	v_lshl_or_b32 v6, v9, 12, v7
	v_cmp_gt_i32_e32 vcc, 1, v9
	v_cndmask_b32_e32 v5, v6, v5, vcc
	v_and_b32_e32 v6, 7, v5
	v_cmp_lt_i32_e32 vcc, 5, v6
	v_cmp_eq_u32_e64 s[0:1], 3, v6
	v_lshrrev_b32_e32 v5, 2, v5
	s_or_b64 vcc, s[0:1], vcc
	v_addc_co_u32_e32 v10, vcc, 0, v5, vcc
	ds_read2_b32 v[5:6], v49 offset0:84 offset1:182
	v_cmp_gt_i32_e32 vcc, 31, v9
	v_cndmask_b32_e32 v10, v2, v10, vcc
	v_cmp_ne_u32_e32 vcc, 0, v7
	v_cndmask_b32_e64 v7, 0, 1, vcc
	s_waitcnt lgkmcnt(0)
	v_lshrrev_b32_e32 v11, 16, v5
	v_mul_f16_sdwa v12, v47, v11 dst_sel:DWORD dst_unused:UNUSED_PAD src0_sel:WORD_1 src1_sel:DWORD
	v_fma_f16 v12, v47, v5, v12
	v_cvt_f32_f16_e32 v12, v12
	v_lshl_or_b32 v7, v7, 9, v2
	v_cmp_eq_u32_e32 vcc, s10, v9
	v_cndmask_b32_e32 v7, v10, v7, vcc
	v_cvt_f64_f32_e32 v[9:10], v12
	v_lshrrev_b32_e32 v8, 16, v8
	v_and_or_b32 v12, v8, s11, v7
	v_and_b32_e32 v1, 0xffff, v1
	v_mul_f64 v[7:8], v[9:10], s[2:3]
	v_mov_b32_e32 v9, s9
	v_add_co_u32_e32 v3, vcc, s8, v3
	v_lshl_or_b32 v1, v12, 16, v1
	v_addc_co_u32_e32 v4, vcc, v4, v9, vcc
	global_store_dword v[3:4], v1, off
	v_and_or_b32 v1, v8, s6, v7
	v_cmp_ne_u32_e32 vcc, 0, v1
	v_cndmask_b32_e64 v1, 0, 1, vcc
	v_lshrrev_b32_e32 v7, 8, v8
	v_bfe_u32 v9, v8, 20, 11
	v_and_or_b32 v1, v7, s7, v1
	v_sub_u32_e32 v10, 0x3f1, v9
	v_or_b32_e32 v7, 0x1000, v1
	v_med3_i32 v10, v10, 0, 13
	v_lshrrev_b32_e32 v12, v10, v7
	v_lshlrev_b32_e32 v10, v10, v12
	v_cmp_ne_u32_e32 vcc, v10, v7
	v_mul_f16_sdwa v5, v47, v5 dst_sel:DWORD dst_unused:UNUSED_PAD src0_sel:WORD_1 src1_sel:DWORD
	v_cndmask_b32_e64 v7, 0, 1, vcc
	v_fma_f16 v5, v47, v11, -v5
	v_or_b32_e32 v7, v12, v7
	v_add_u32_e32 v12, 0xfffffc10, v9
	v_cvt_f32_f16_e32 v5, v5
	v_lshl_or_b32 v9, v12, 12, v1
	v_cmp_gt_i32_e32 vcc, 1, v12
	v_cndmask_b32_e32 v7, v9, v7, vcc
	v_and_b32_e32 v9, 7, v7
	v_cmp_lt_i32_e32 vcc, 5, v9
	v_cmp_eq_u32_e64 s[0:1], 3, v9
	v_cvt_f64_f32_e32 v[9:10], v5
	v_lshrrev_b32_e32 v7, 2, v7
	s_or_b64 vcc, s[0:1], vcc
	v_addc_co_u32_e32 v5, vcc, 0, v7, vcc
	v_mul_f64 v[9:10], v[9:10], s[2:3]
	v_cmp_gt_i32_e32 vcc, 31, v12
	v_cndmask_b32_e32 v5, v2, v5, vcc
	v_cmp_ne_u32_e32 vcc, 0, v1
	v_cndmask_b32_e64 v1, 0, 1, vcc
	v_lshl_or_b32 v1, v1, 9, v2
	v_cmp_eq_u32_e32 vcc, s10, v12
	v_cndmask_b32_e32 v1, v5, v1, vcc
	v_lshrrev_b32_e32 v5, 16, v8
	v_and_or_b32 v1, v5, s11, v1
	v_and_or_b32 v5, v10, s6, v9
	v_cmp_ne_u32_e32 vcc, 0, v5
	v_cndmask_b32_e64 v5, 0, 1, vcc
	v_lshrrev_b32_e32 v7, 8, v10
	v_bfe_u32 v8, v10, 20, 11
	v_and_or_b32 v5, v7, s7, v5
	v_sub_u32_e32 v9, 0x3f1, v8
	v_or_b32_e32 v7, 0x1000, v5
	v_med3_i32 v9, v9, 0, 13
	v_lshrrev_b32_e32 v11, v9, v7
	v_lshlrev_b32_e32 v9, v9, v11
	v_cmp_ne_u32_e32 vcc, v9, v7
	v_cndmask_b32_e64 v7, 0, 1, vcc
	v_add_u32_e32 v9, 0xfffffc10, v8
	v_or_b32_e32 v7, v11, v7
	v_lshl_or_b32 v8, v9, 12, v5
	v_cmp_gt_i32_e32 vcc, 1, v9
	v_cndmask_b32_e32 v7, v8, v7, vcc
	v_and_b32_e32 v8, 7, v7
	v_cmp_lt_i32_e32 vcc, 5, v8
	v_cmp_eq_u32_e64 s[0:1], 3, v8
	v_lshrrev_b32_e32 v7, 2, v7
	s_or_b64 vcc, s[0:1], vcc
	v_addc_co_u32_e32 v11, vcc, 0, v7, vcc
	ds_read2_b32 v[7:8], v48 offset0:136 offset1:234
	v_cmp_gt_i32_e32 vcc, 31, v9
	v_cndmask_b32_e32 v11, v2, v11, vcc
	v_cmp_ne_u32_e32 vcc, 0, v5
	v_cndmask_b32_e64 v5, 0, 1, vcc
	s_waitcnt lgkmcnt(0)
	v_lshrrev_b32_e32 v13, 16, v7
	v_mul_f16_sdwa v12, v44, v13 dst_sel:DWORD dst_unused:UNUSED_PAD src0_sel:WORD_1 src1_sel:DWORD
	v_fma_f16 v12, v44, v7, v12
	v_cvt_f32_f16_e32 v12, v12
	v_lshl_or_b32 v5, v5, 9, v2
	v_cmp_eq_u32_e32 vcc, s10, v9
	v_cndmask_b32_e32 v5, v11, v5, vcc
	v_cvt_f64_f32_e32 v[11:12], v12
	v_lshrrev_b32_e32 v9, 16, v10
	v_and_or_b32 v5, v9, s11, v5
	v_and_b32_e32 v1, 0xffff, v1
	v_mul_f64 v[9:10], v[11:12], s[2:3]
	v_lshl_or_b32 v1, v5, 16, v1
	v_mov_b32_e32 v5, s4
	v_add_co_u32_e32 v3, vcc, s5, v3
	v_addc_co_u32_e32 v4, vcc, v4, v5, vcc
	global_store_dword v[3:4], v1, off
	v_and_or_b32 v1, v10, s6, v9
	v_cmp_ne_u32_e32 vcc, 0, v1
	v_cndmask_b32_e64 v1, 0, 1, vcc
	v_lshrrev_b32_e32 v5, 8, v10
	v_bfe_u32 v9, v10, 20, 11
	v_and_or_b32 v1, v5, s7, v1
	v_sub_u32_e32 v11, 0x3f1, v9
	v_or_b32_e32 v5, 0x1000, v1
	v_med3_i32 v11, v11, 0, 13
	v_lshrrev_b32_e32 v12, v11, v5
	v_lshlrev_b32_e32 v11, v11, v12
	v_mul_f16_sdwa v7, v44, v7 dst_sel:DWORD dst_unused:UNUSED_PAD src0_sel:WORD_1 src1_sel:DWORD
	v_cmp_ne_u32_e32 vcc, v11, v5
	v_fma_f16 v7, v44, v13, -v7
	v_cndmask_b32_e64 v5, 0, 1, vcc
	v_add_u32_e32 v9, 0xfffffc10, v9
	v_cvt_f32_f16_e32 v7, v7
	v_or_b32_e32 v5, v12, v5
	v_lshl_or_b32 v11, v9, 12, v1
	v_cmp_gt_i32_e32 vcc, 1, v9
	v_cndmask_b32_e32 v5, v11, v5, vcc
	v_and_b32_e32 v11, 7, v5
	v_cmp_lt_i32_e32 vcc, 5, v11
	v_cmp_eq_u32_e64 s[0:1], 3, v11
	v_cvt_f64_f32_e32 v[11:12], v7
	v_lshrrev_b32_e32 v5, 2, v5
	s_or_b64 vcc, s[0:1], vcc
	v_addc_co_u32_e32 v5, vcc, 0, v5, vcc
	v_mul_f64 v[11:12], v[11:12], s[2:3]
	v_cmp_gt_i32_e32 vcc, 31, v9
	v_cndmask_b32_e32 v5, v2, v5, vcc
	v_cmp_ne_u32_e32 vcc, 0, v1
	v_cndmask_b32_e64 v1, 0, 1, vcc
	v_lshl_or_b32 v1, v1, 9, v2
	v_cmp_eq_u32_e32 vcc, s10, v9
	v_cndmask_b32_e32 v1, v5, v1, vcc
	v_lshrrev_b32_e32 v5, 16, v10
	v_and_or_b32 v1, v5, s11, v1
	v_and_or_b32 v5, v12, s6, v11
	v_cmp_ne_u32_e32 vcc, 0, v5
	v_cndmask_b32_e64 v5, 0, 1, vcc
	v_lshrrev_b32_e32 v7, 8, v12
	v_bfe_u32 v9, v12, 20, 11
	v_and_or_b32 v5, v7, s7, v5
	v_sub_u32_e32 v10, 0x3f1, v9
	v_or_b32_e32 v7, 0x1000, v5
	v_med3_i32 v10, v10, 0, 13
	v_lshrrev_b32_e32 v11, v10, v7
	v_lshlrev_b32_e32 v10, v10, v11
	v_cmp_ne_u32_e32 vcc, v10, v7
	v_cndmask_b32_e64 v7, 0, 1, vcc
	v_add_u32_e32 v9, 0xfffffc10, v9
	v_or_b32_e32 v7, v11, v7
	v_lshl_or_b32 v10, v9, 12, v5
	v_cmp_gt_i32_e32 vcc, 1, v9
	v_cndmask_b32_e32 v7, v10, v7, vcc
	v_and_b32_e32 v10, 7, v7
	v_lshrrev_b32_e32 v11, 16, v6
	v_cmp_lt_i32_e32 vcc, 5, v10
	v_cmp_eq_u32_e64 s[0:1], 3, v10
	v_mul_f16_sdwa v10, v45, v11 dst_sel:DWORD dst_unused:UNUSED_PAD src0_sel:WORD_1 src1_sel:DWORD
	v_fma_f16 v10, v45, v6, v10
	v_lshrrev_b32_e32 v7, 2, v7
	s_or_b64 vcc, s[0:1], vcc
	v_cvt_f32_f16_e32 v10, v10
	v_addc_co_u32_e32 v7, vcc, 0, v7, vcc
	v_cmp_gt_i32_e32 vcc, 31, v9
	v_cndmask_b32_e32 v7, v2, v7, vcc
	v_cmp_ne_u32_e32 vcc, 0, v5
	v_cndmask_b32_e64 v5, 0, 1, vcc
	v_cmp_eq_u32_e32 vcc, s10, v9
	v_cvt_f64_f32_e32 v[9:10], v10
	v_lshl_or_b32 v5, v5, 9, v2
	v_cndmask_b32_e32 v5, v7, v5, vcc
	v_lshrrev_b32_e32 v7, 16, v12
	v_mul_f64 v[9:10], v[9:10], s[2:3]
	v_and_or_b32 v5, v7, s11, v5
	v_and_b32_e32 v1, 0xffff, v1
	v_lshl_or_b32 v1, v5, 16, v1
	v_mov_b32_e32 v5, s9
	v_add_co_u32_e32 v3, vcc, s8, v3
	v_addc_co_u32_e32 v4, vcc, v4, v5, vcc
	global_store_dword v[3:4], v1, off
	v_and_or_b32 v1, v10, s6, v9
	v_cmp_ne_u32_e32 vcc, 0, v1
	v_cndmask_b32_e64 v1, 0, 1, vcc
	v_lshrrev_b32_e32 v5, 8, v10
	v_bfe_u32 v7, v10, 20, 11
	v_and_or_b32 v1, v5, s7, v1
	v_sub_u32_e32 v9, 0x3f1, v7
	v_or_b32_e32 v5, 0x1000, v1
	v_med3_i32 v9, v9, 0, 13
	v_lshrrev_b32_e32 v12, v9, v5
	v_lshlrev_b32_e32 v9, v9, v12
	v_mul_f16_sdwa v6, v45, v6 dst_sel:DWORD dst_unused:UNUSED_PAD src0_sel:WORD_1 src1_sel:DWORD
	v_cmp_ne_u32_e32 vcc, v9, v5
	v_fma_f16 v6, v45, v11, -v6
	v_cndmask_b32_e64 v5, 0, 1, vcc
	v_add_u32_e32 v7, 0xfffffc10, v7
	v_cvt_f32_f16_e32 v6, v6
	v_or_b32_e32 v5, v12, v5
	v_lshl_or_b32 v9, v7, 12, v1
	v_cmp_gt_i32_e32 vcc, 1, v7
	v_cndmask_b32_e32 v5, v9, v5, vcc
	v_and_b32_e32 v9, 7, v5
	v_cmp_lt_i32_e32 vcc, 5, v9
	v_cmp_eq_u32_e64 s[0:1], 3, v9
	v_lshrrev_b32_e32 v9, 2, v5
	v_cvt_f64_f32_e32 v[5:6], v6
	s_or_b64 vcc, s[0:1], vcc
	v_addc_co_u32_e32 v9, vcc, 0, v9, vcc
	v_mul_f64 v[5:6], v[5:6], s[2:3]
	v_cmp_gt_i32_e32 vcc, 31, v7
	v_cndmask_b32_e32 v9, v2, v9, vcc
	v_cmp_ne_u32_e32 vcc, 0, v1
	v_cndmask_b32_e64 v1, 0, 1, vcc
	v_lshl_or_b32 v1, v1, 9, v2
	v_cmp_eq_u32_e32 vcc, s10, v7
	v_cndmask_b32_e32 v1, v9, v1, vcc
	v_and_or_b32 v5, v6, s6, v5
	v_lshrrev_b32_e32 v7, 16, v10
	v_cmp_ne_u32_e32 vcc, 0, v5
	v_and_or_b32 v1, v7, s11, v1
	v_cndmask_b32_e64 v5, 0, 1, vcc
	v_lshrrev_b32_e32 v7, 8, v6
	v_bfe_u32 v9, v6, 20, 11
	v_and_or_b32 v5, v7, s7, v5
	v_sub_u32_e32 v10, 0x3f1, v9
	v_or_b32_e32 v7, 0x1000, v5
	v_med3_i32 v10, v10, 0, 13
	v_lshrrev_b32_e32 v11, v10, v7
	v_lshlrev_b32_e32 v10, v10, v11
	v_cmp_ne_u32_e32 vcc, v10, v7
	v_cndmask_b32_e64 v7, 0, 1, vcc
	v_add_u32_e32 v9, 0xfffffc10, v9
	v_or_b32_e32 v7, v11, v7
	v_lshl_or_b32 v10, v9, 12, v5
	v_cmp_gt_i32_e32 vcc, 1, v9
	v_cndmask_b32_e32 v7, v10, v7, vcc
	v_and_b32_e32 v10, 7, v7
	v_lshrrev_b32_e32 v11, 16, v8
	v_cmp_lt_i32_e32 vcc, 5, v10
	v_cmp_eq_u32_e64 s[0:1], 3, v10
	v_mul_f16_sdwa v10, v42, v11 dst_sel:DWORD dst_unused:UNUSED_PAD src0_sel:WORD_1 src1_sel:DWORD
	v_fma_f16 v10, v42, v8, v10
	v_lshrrev_b32_e32 v7, 2, v7
	s_or_b64 vcc, s[0:1], vcc
	v_cvt_f32_f16_e32 v10, v10
	v_addc_co_u32_e32 v7, vcc, 0, v7, vcc
	v_cmp_gt_i32_e32 vcc, 31, v9
	v_cndmask_b32_e32 v7, v2, v7, vcc
	v_cmp_ne_u32_e32 vcc, 0, v5
	v_cndmask_b32_e64 v5, 0, 1, vcc
	v_cmp_eq_u32_e32 vcc, s10, v9
	v_cvt_f64_f32_e32 v[9:10], v10
	v_lshl_or_b32 v5, v5, 9, v2
	v_cndmask_b32_e32 v5, v7, v5, vcc
	v_lshrrev_b32_e32 v6, 16, v6
	v_and_or_b32 v7, v6, s11, v5
	v_mul_f64 v[5:6], v[9:10], s[2:3]
	v_and_b32_e32 v1, 0xffff, v1
	v_lshl_or_b32 v1, v7, 16, v1
	v_mov_b32_e32 v7, s4
	v_add_co_u32_e32 v3, vcc, s5, v3
	v_addc_co_u32_e32 v4, vcc, v4, v7, vcc
	global_store_dword v[3:4], v1, off
	v_and_or_b32 v1, v6, s6, v5
	v_cmp_ne_u32_e32 vcc, 0, v1
	v_cndmask_b32_e64 v1, 0, 1, vcc
	v_lshrrev_b32_e32 v5, 8, v6
	v_bfe_u32 v7, v6, 20, 11
	v_and_or_b32 v1, v5, s7, v1
	v_sub_u32_e32 v9, 0x3f1, v7
	v_or_b32_e32 v5, 0x1000, v1
	v_med3_i32 v9, v9, 0, 13
	v_lshrrev_b32_e32 v10, v9, v5
	v_lshlrev_b32_e32 v9, v9, v10
	v_mul_f16_sdwa v8, v42, v8 dst_sel:DWORD dst_unused:UNUSED_PAD src0_sel:WORD_1 src1_sel:DWORD
	v_cmp_ne_u32_e32 vcc, v9, v5
	v_fma_f16 v8, v42, v11, -v8
	v_cndmask_b32_e64 v5, 0, 1, vcc
	v_add_u32_e32 v9, 0xfffffc10, v7
	v_cvt_f32_f16_e32 v8, v8
	v_or_b32_e32 v5, v10, v5
	v_lshl_or_b32 v7, v9, 12, v1
	v_cmp_gt_i32_e32 vcc, 1, v9
	v_cndmask_b32_e32 v5, v7, v5, vcc
	v_and_b32_e32 v7, 7, v5
	v_cmp_lt_i32_e32 vcc, 5, v7
	v_cmp_eq_u32_e64 s[0:1], 3, v7
	v_cvt_f64_f32_e32 v[7:8], v8
	v_lshrrev_b32_e32 v5, 2, v5
	s_or_b64 vcc, s[0:1], vcc
	v_addc_co_u32_e32 v5, vcc, 0, v5, vcc
	v_mul_f64 v[7:8], v[7:8], s[2:3]
	v_cmp_gt_i32_e32 vcc, 31, v9
	v_cndmask_b32_e32 v5, v2, v5, vcc
	v_cmp_ne_u32_e32 vcc, 0, v1
	v_cndmask_b32_e64 v1, 0, 1, vcc
	v_lshl_or_b32 v1, v1, 9, v2
	v_cmp_eq_u32_e32 vcc, s10, v9
	v_cndmask_b32_e32 v1, v5, v1, vcc
	v_lshrrev_b32_e32 v5, 16, v6
	v_and_or_b32 v1, v5, s11, v1
	v_and_or_b32 v5, v8, s6, v7
	v_cmp_ne_u32_e32 vcc, 0, v5
	v_cndmask_b32_e64 v5, 0, 1, vcc
	v_lshrrev_b32_e32 v6, 8, v8
	v_and_or_b32 v7, v6, s7, v5
	v_bfe_u32 v6, v8, 20, 11
	v_sub_u32_e32 v9, 0x3f1, v6
	v_or_b32_e32 v5, 0x1000, v7
	v_med3_i32 v9, v9, 0, 13
	v_lshrrev_b32_e32 v10, v9, v5
	v_lshlrev_b32_e32 v9, v9, v10
	v_cmp_ne_u32_e32 vcc, v9, v5
	v_cndmask_b32_e64 v5, 0, 1, vcc
	v_add_u32_e32 v9, 0xfffffc10, v6
	v_or_b32_e32 v5, v10, v5
	v_lshl_or_b32 v6, v9, 12, v7
	v_cmp_gt_i32_e32 vcc, 1, v9
	v_cndmask_b32_e32 v5, v6, v5, vcc
	v_and_b32_e32 v6, 7, v5
	v_cmp_lt_i32_e32 vcc, 5, v6
	v_cmp_eq_u32_e64 s[0:1], 3, v6
	v_lshrrev_b32_e32 v5, 2, v5
	s_or_b64 vcc, s[0:1], vcc
	v_addc_co_u32_e32 v10, vcc, 0, v5, vcc
	ds_read2_b32 v[5:6], v43 offset0:152 offset1:250
	v_cmp_gt_i32_e32 vcc, 31, v9
	v_cndmask_b32_e32 v10, v2, v10, vcc
	v_cmp_ne_u32_e32 vcc, 0, v7
	v_cndmask_b32_e64 v7, 0, 1, vcc
	s_waitcnt lgkmcnt(0)
	v_lshrrev_b32_e32 v11, 16, v5
	v_mul_f16_sdwa v12, v41, v11 dst_sel:DWORD dst_unused:UNUSED_PAD src0_sel:WORD_1 src1_sel:DWORD
	v_fma_f16 v12, v41, v5, v12
	v_cvt_f32_f16_e32 v12, v12
	v_lshl_or_b32 v7, v7, 9, v2
	v_cmp_eq_u32_e32 vcc, s10, v9
	v_cndmask_b32_e32 v7, v10, v7, vcc
	v_cvt_f64_f32_e32 v[9:10], v12
	v_lshrrev_b32_e32 v8, 16, v8
	v_and_or_b32 v12, v8, s11, v7
	v_and_b32_e32 v1, 0xffff, v1
	v_mul_f64 v[7:8], v[9:10], s[2:3]
	v_mov_b32_e32 v9, s9
	v_add_co_u32_e32 v3, vcc, s8, v3
	v_lshl_or_b32 v1, v12, 16, v1
	v_addc_co_u32_e32 v4, vcc, v4, v9, vcc
	global_store_dword v[3:4], v1, off
	v_and_or_b32 v1, v8, s6, v7
	v_cmp_ne_u32_e32 vcc, 0, v1
	v_cndmask_b32_e64 v1, 0, 1, vcc
	v_lshrrev_b32_e32 v7, 8, v8
	v_bfe_u32 v9, v8, 20, 11
	v_and_or_b32 v1, v7, s7, v1
	v_sub_u32_e32 v10, 0x3f1, v9
	v_or_b32_e32 v7, 0x1000, v1
	v_med3_i32 v10, v10, 0, 13
	v_lshrrev_b32_e32 v12, v10, v7
	v_lshlrev_b32_e32 v10, v10, v12
	v_cmp_ne_u32_e32 vcc, v10, v7
	v_mul_f16_sdwa v5, v41, v5 dst_sel:DWORD dst_unused:UNUSED_PAD src0_sel:WORD_1 src1_sel:DWORD
	v_cndmask_b32_e64 v7, 0, 1, vcc
	v_fma_f16 v5, v41, v11, -v5
	v_or_b32_e32 v7, v12, v7
	v_add_u32_e32 v12, 0xfffffc10, v9
	v_cvt_f32_f16_e32 v5, v5
	v_lshl_or_b32 v9, v12, 12, v1
	v_cmp_gt_i32_e32 vcc, 1, v12
	v_cndmask_b32_e32 v7, v9, v7, vcc
	v_and_b32_e32 v9, 7, v7
	v_cmp_lt_i32_e32 vcc, 5, v9
	v_cmp_eq_u32_e64 s[0:1], 3, v9
	v_cvt_f64_f32_e32 v[9:10], v5
	v_lshrrev_b32_e32 v7, 2, v7
	s_or_b64 vcc, s[0:1], vcc
	v_addc_co_u32_e32 v5, vcc, 0, v7, vcc
	v_mul_f64 v[9:10], v[9:10], s[2:3]
	v_cmp_gt_i32_e32 vcc, 31, v12
	v_cndmask_b32_e32 v5, v2, v5, vcc
	v_cmp_ne_u32_e32 vcc, 0, v1
	v_cndmask_b32_e64 v1, 0, 1, vcc
	v_lshl_or_b32 v1, v1, 9, v2
	v_cmp_eq_u32_e32 vcc, s10, v12
	v_cndmask_b32_e32 v1, v5, v1, vcc
	v_lshrrev_b32_e32 v5, 16, v8
	v_and_or_b32 v1, v5, s11, v1
	v_and_or_b32 v5, v10, s6, v9
	v_cmp_ne_u32_e32 vcc, 0, v5
	v_cndmask_b32_e64 v5, 0, 1, vcc
	v_lshrrev_b32_e32 v7, 8, v10
	v_bfe_u32 v8, v10, 20, 11
	v_and_or_b32 v5, v7, s7, v5
	v_sub_u32_e32 v9, 0x3f1, v8
	v_or_b32_e32 v7, 0x1000, v5
	v_med3_i32 v9, v9, 0, 13
	v_lshrrev_b32_e32 v11, v9, v7
	v_lshlrev_b32_e32 v9, v9, v11
	v_cmp_ne_u32_e32 vcc, v9, v7
	v_cndmask_b32_e64 v7, 0, 1, vcc
	v_add_u32_e32 v8, 0xfffffc10, v8
	v_or_b32_e32 v7, v11, v7
	v_lshl_or_b32 v9, v8, 12, v5
	v_cmp_gt_i32_e32 vcc, 1, v8
	v_cndmask_b32_e32 v7, v9, v7, vcc
	v_and_b32_e32 v9, 7, v7
	v_cmp_lt_i32_e32 vcc, 5, v9
	v_cmp_eq_u32_e64 s[0:1], 3, v9
	v_lshrrev_b32_e32 v9, 16, v0
	v_lshrrev_b32_e32 v7, 2, v7
	s_or_b64 vcc, s[0:1], vcc
	v_mul_f16_sdwa v11, v40, v9 dst_sel:DWORD dst_unused:UNUSED_PAD src0_sel:WORD_1 src1_sel:DWORD
	v_addc_co_u32_e32 v7, vcc, 0, v7, vcc
	v_fma_f16 v11, v40, v0, v11
	v_cmp_gt_i32_e32 vcc, 31, v8
	v_cvt_f32_f16_e32 v11, v11
	v_cndmask_b32_e32 v7, v2, v7, vcc
	v_cmp_ne_u32_e32 vcc, 0, v5
	v_cndmask_b32_e64 v5, 0, 1, vcc
	v_lshl_or_b32 v5, v5, 9, v2
	v_cmp_eq_u32_e32 vcc, s10, v8
	v_cndmask_b32_e32 v5, v7, v5, vcc
	v_cvt_f64_f32_e32 v[7:8], v11
	v_lshrrev_b32_e32 v10, 16, v10
	v_and_or_b32 v5, v10, s11, v5
	v_and_b32_e32 v1, 0xffff, v1
	v_mul_f64 v[7:8], v[7:8], s[2:3]
	v_lshl_or_b32 v1, v5, 16, v1
	v_mov_b32_e32 v5, s4
	v_add_co_u32_e32 v3, vcc, s5, v3
	v_addc_co_u32_e32 v4, vcc, v4, v5, vcc
	global_store_dword v[3:4], v1, off
	v_and_or_b32 v1, v8, s6, v7
	v_cmp_ne_u32_e32 vcc, 0, v1
	v_cndmask_b32_e64 v1, 0, 1, vcc
	v_lshrrev_b32_e32 v5, 8, v8
	v_bfe_u32 v7, v8, 20, 11
	v_and_or_b32 v5, v5, s7, v1
	v_sub_u32_e32 v10, 0x3f1, v7
	v_or_b32_e32 v1, 0x1000, v5
	v_med3_i32 v10, v10, 0, 13
	v_lshrrev_b32_e32 v11, v10, v1
	v_mul_f16_sdwa v0, v40, v0 dst_sel:DWORD dst_unused:UNUSED_PAD src0_sel:WORD_1 src1_sel:DWORD
	v_lshlrev_b32_e32 v10, v10, v11
	v_fma_f16 v0, v40, v9, -v0
	v_cmp_ne_u32_e32 vcc, v10, v1
	v_cvt_f32_f16_e32 v0, v0
	v_cndmask_b32_e64 v1, 0, 1, vcc
	v_add_u32_e32 v7, 0xfffffc10, v7
	v_or_b32_e32 v1, v11, v1
	v_lshl_or_b32 v10, v7, 12, v5
	v_cmp_gt_i32_e32 vcc, 1, v7
	v_cndmask_b32_e32 v1, v10, v1, vcc
	v_and_b32_e32 v10, 7, v1
	v_lshrrev_b32_e32 v9, 2, v1
	v_cvt_f64_f32_e32 v[0:1], v0
	v_cmp_lt_i32_e32 vcc, 5, v10
	v_cmp_eq_u32_e64 s[0:1], 3, v10
	s_or_b64 vcc, s[0:1], vcc
	v_mul_f64 v[0:1], v[0:1], s[2:3]
	v_addc_co_u32_e32 v9, vcc, 0, v9, vcc
	v_cmp_gt_i32_e32 vcc, 31, v7
	v_cndmask_b32_e32 v9, v2, v9, vcc
	v_cmp_ne_u32_e32 vcc, 0, v5
	v_cndmask_b32_e64 v5, 0, 1, vcc
	v_lshl_or_b32 v5, v5, 9, v2
	v_cmp_eq_u32_e32 vcc, s10, v7
	v_and_or_b32 v0, v1, s6, v0
	v_cndmask_b32_e32 v5, v9, v5, vcc
	v_lshrrev_b32_e32 v7, 16, v8
	v_cmp_ne_u32_e32 vcc, 0, v0
	v_and_or_b32 v5, v7, s11, v5
	v_cndmask_b32_e64 v0, 0, 1, vcc
	v_lshrrev_b32_e32 v7, 8, v1
	v_bfe_u32 v8, v1, 20, 11
	v_and_or_b32 v0, v7, s7, v0
	v_sub_u32_e32 v9, 0x3f1, v8
	v_or_b32_e32 v7, 0x1000, v0
	v_med3_i32 v9, v9, 0, 13
	v_lshrrev_b32_e32 v10, v9, v7
	v_lshlrev_b32_e32 v9, v9, v10
	v_cmp_ne_u32_e32 vcc, v9, v7
	v_cndmask_b32_e64 v7, 0, 1, vcc
	v_add_u32_e32 v8, 0xfffffc10, v8
	v_or_b32_e32 v7, v10, v7
	v_lshl_or_b32 v9, v8, 12, v0
	v_cmp_gt_i32_e32 vcc, 1, v8
	v_cndmask_b32_e32 v7, v9, v7, vcc
	v_and_b32_e32 v9, 7, v7
	v_cmp_lt_i32_e32 vcc, 5, v9
	v_cmp_eq_u32_e64 s[0:1], 3, v9
	v_lshrrev_b32_e32 v9, 16, v6
	v_lshrrev_b32_e32 v7, 2, v7
	s_or_b64 vcc, s[0:1], vcc
	v_mul_f16_sdwa v10, v39, v9 dst_sel:DWORD dst_unused:UNUSED_PAD src0_sel:WORD_1 src1_sel:DWORD
	v_addc_co_u32_e32 v7, vcc, 0, v7, vcc
	v_fma_f16 v10, v39, v6, v10
	v_cmp_gt_i32_e32 vcc, 31, v8
	v_cvt_f32_f16_e32 v10, v10
	v_cndmask_b32_e32 v7, v2, v7, vcc
	v_cmp_ne_u32_e32 vcc, 0, v0
	v_cndmask_b32_e64 v0, 0, 1, vcc
	v_lshl_or_b32 v0, v0, 9, v2
	v_cmp_eq_u32_e32 vcc, s10, v8
	v_cndmask_b32_e32 v0, v7, v0, vcc
	v_cvt_f64_f32_e32 v[7:8], v10
	v_lshrrev_b32_e32 v1, 16, v1
	v_and_or_b32 v10, v1, s11, v0
	v_add_co_u32_e32 v3, vcc, s8, v3
	v_mul_f64 v[0:1], v[7:8], s[2:3]
	v_mov_b32_e32 v7, s9
	v_and_b32_e32 v5, 0xffff, v5
	v_addc_co_u32_e32 v4, vcc, v4, v7, vcc
	v_lshl_or_b32 v5, v10, 16, v5
	global_store_dword v[3:4], v5, off
	v_mul_f16_sdwa v6, v39, v6 dst_sel:DWORD dst_unused:UNUSED_PAD src0_sel:WORD_1 src1_sel:DWORD
	v_and_or_b32 v0, v1, s6, v0
	v_cmp_ne_u32_e32 vcc, 0, v0
	v_cndmask_b32_e64 v0, 0, 1, vcc
	v_lshrrev_b32_e32 v5, 8, v1
	v_bfe_u32 v7, v1, 20, 11
	v_and_or_b32 v0, v5, s7, v0
	v_sub_u32_e32 v8, 0x3f1, v7
	v_or_b32_e32 v5, 0x1000, v0
	v_med3_i32 v8, v8, 0, 13
	v_lshrrev_b32_e32 v10, v8, v5
	v_lshlrev_b32_e32 v8, v8, v10
	v_cmp_ne_u32_e32 vcc, v8, v5
	v_fma_f16 v6, v39, v9, -v6
	v_cndmask_b32_e64 v5, 0, 1, vcc
	v_add_u32_e32 v7, 0xfffffc10, v7
	v_cvt_f32_f16_e32 v6, v6
	v_or_b32_e32 v5, v10, v5
	v_lshl_or_b32 v8, v7, 12, v0
	v_cmp_gt_i32_e32 vcc, 1, v7
	v_cndmask_b32_e32 v5, v8, v5, vcc
	v_and_b32_e32 v8, 7, v5
	v_cmp_lt_i32_e32 vcc, 5, v8
	v_cmp_eq_u32_e64 s[0:1], 3, v8
	v_lshrrev_b32_e32 v8, 2, v5
	v_cvt_f64_f32_e32 v[5:6], v6
	s_or_b64 vcc, s[0:1], vcc
	v_addc_co_u32_e32 v8, vcc, 0, v8, vcc
	v_mul_f64 v[5:6], v[5:6], s[2:3]
	v_cmp_gt_i32_e32 vcc, 31, v7
	v_cndmask_b32_e32 v8, v2, v8, vcc
	v_cmp_ne_u32_e32 vcc, 0, v0
	v_cndmask_b32_e64 v0, 0, 1, vcc
	v_lshl_or_b32 v0, v0, 9, v2
	v_cmp_eq_u32_e32 vcc, s10, v7
	v_cndmask_b32_e32 v0, v8, v0, vcc
	v_lshrrev_b32_e32 v1, 16, v1
	v_and_or_b32 v0, v1, s11, v0
	v_and_or_b32 v1, v6, s6, v5
	v_cmp_ne_u32_e32 vcc, 0, v1
	v_cndmask_b32_e64 v1, 0, 1, vcc
	v_lshrrev_b32_e32 v5, 8, v6
	v_bfe_u32 v7, v6, 20, 11
	v_and_or_b32 v1, v5, s7, v1
	v_sub_u32_e32 v8, 0x3f1, v7
	v_or_b32_e32 v5, 0x1000, v1
	v_med3_i32 v8, v8, 0, 13
	v_lshrrev_b32_e32 v9, v8, v5
	v_lshlrev_b32_e32 v8, v8, v9
	v_cmp_ne_u32_e32 vcc, v8, v5
	v_cndmask_b32_e64 v5, 0, 1, vcc
	v_add_u32_e32 v7, 0xfffffc10, v7
	v_or_b32_e32 v5, v9, v5
	v_lshl_or_b32 v8, v7, 12, v1
	v_cmp_gt_i32_e32 vcc, 1, v7
	v_cndmask_b32_e32 v5, v8, v5, vcc
	v_and_b32_e32 v8, 7, v5
	v_cmp_lt_i32_e32 vcc, 5, v8
	v_cmp_eq_u32_e64 s[0:1], 3, v8
	v_lshrrev_b32_e32 v5, 2, v5
	s_or_b64 vcc, s[0:1], vcc
	v_addc_co_u32_e32 v5, vcc, 0, v5, vcc
	v_cmp_gt_i32_e32 vcc, 31, v7
	v_cndmask_b32_e32 v5, v2, v5, vcc
	v_cmp_ne_u32_e32 vcc, 0, v1
	v_cndmask_b32_e64 v1, 0, 1, vcc
	v_lshl_or_b32 v1, v1, 9, v2
	v_cmp_eq_u32_e32 vcc, s10, v7
	v_cndmask_b32_e32 v1, v5, v1, vcc
	v_lshrrev_b32_e32 v2, 16, v6
	v_and_or_b32 v1, v2, s11, v1
	v_and_b32_e32 v0, 0xffff, v0
	v_lshl_or_b32 v2, v1, 16, v0
	v_mov_b32_e32 v1, s4
	v_add_co_u32_e32 v0, vcc, s5, v3
	v_addc_co_u32_e32 v1, vcc, v4, v1, vcc
	global_store_dword v[0:1], v2, off
.LBB0_2:
	s_endpgm
	.section	.rodata,"a",@progbits
	.p2align	6, 0x0
	.amdhsa_kernel bluestein_single_fwd_len1372_dim1_half_op_CI_CI
		.amdhsa_group_segment_fixed_size 10976
		.amdhsa_private_segment_fixed_size 0
		.amdhsa_kernarg_size 104
		.amdhsa_user_sgpr_count 6
		.amdhsa_user_sgpr_private_segment_buffer 1
		.amdhsa_user_sgpr_dispatch_ptr 0
		.amdhsa_user_sgpr_queue_ptr 0
		.amdhsa_user_sgpr_kernarg_segment_ptr 1
		.amdhsa_user_sgpr_dispatch_id 0
		.amdhsa_user_sgpr_flat_scratch_init 0
		.amdhsa_user_sgpr_private_segment_size 0
		.amdhsa_uses_dynamic_stack 0
		.amdhsa_system_sgpr_private_segment_wavefront_offset 0
		.amdhsa_system_sgpr_workgroup_id_x 1
		.amdhsa_system_sgpr_workgroup_id_y 0
		.amdhsa_system_sgpr_workgroup_id_z 0
		.amdhsa_system_sgpr_workgroup_info 0
		.amdhsa_system_vgpr_workitem_id 0
		.amdhsa_next_free_vgpr 118
		.amdhsa_next_free_sgpr 20
		.amdhsa_reserve_vcc 1
		.amdhsa_reserve_flat_scratch 0
		.amdhsa_float_round_mode_32 0
		.amdhsa_float_round_mode_16_64 0
		.amdhsa_float_denorm_mode_32 3
		.amdhsa_float_denorm_mode_16_64 3
		.amdhsa_dx10_clamp 1
		.amdhsa_ieee_mode 1
		.amdhsa_fp16_overflow 0
		.amdhsa_exception_fp_ieee_invalid_op 0
		.amdhsa_exception_fp_denorm_src 0
		.amdhsa_exception_fp_ieee_div_zero 0
		.amdhsa_exception_fp_ieee_overflow 0
		.amdhsa_exception_fp_ieee_underflow 0
		.amdhsa_exception_fp_ieee_inexact 0
		.amdhsa_exception_int_div_zero 0
	.end_amdhsa_kernel
	.text
.Lfunc_end0:
	.size	bluestein_single_fwd_len1372_dim1_half_op_CI_CI, .Lfunc_end0-bluestein_single_fwd_len1372_dim1_half_op_CI_CI
                                        ; -- End function
	.section	.AMDGPU.csdata,"",@progbits
; Kernel info:
; codeLenInByte = 21468
; NumSgprs: 24
; NumVgprs: 118
; ScratchSize: 0
; MemoryBound: 0
; FloatMode: 240
; IeeeMode: 1
; LDSByteSize: 10976 bytes/workgroup (compile time only)
; SGPRBlocks: 2
; VGPRBlocks: 29
; NumSGPRsForWavesPerEU: 24
; NumVGPRsForWavesPerEU: 118
; Occupancy: 2
; WaveLimiterHint : 1
; COMPUTE_PGM_RSRC2:SCRATCH_EN: 0
; COMPUTE_PGM_RSRC2:USER_SGPR: 6
; COMPUTE_PGM_RSRC2:TRAP_HANDLER: 0
; COMPUTE_PGM_RSRC2:TGID_X_EN: 1
; COMPUTE_PGM_RSRC2:TGID_Y_EN: 0
; COMPUTE_PGM_RSRC2:TGID_Z_EN: 0
; COMPUTE_PGM_RSRC2:TIDIG_COMP_CNT: 0
	.type	__hip_cuid_50ef88204c5a1a7d,@object ; @__hip_cuid_50ef88204c5a1a7d
	.section	.bss,"aw",@nobits
	.globl	__hip_cuid_50ef88204c5a1a7d
__hip_cuid_50ef88204c5a1a7d:
	.byte	0                               ; 0x0
	.size	__hip_cuid_50ef88204c5a1a7d, 1

	.ident	"AMD clang version 19.0.0git (https://github.com/RadeonOpenCompute/llvm-project roc-6.4.0 25133 c7fe45cf4b819c5991fe208aaa96edf142730f1d)"
	.section	".note.GNU-stack","",@progbits
	.addrsig
	.addrsig_sym __hip_cuid_50ef88204c5a1a7d
	.amdgpu_metadata
---
amdhsa.kernels:
  - .args:
      - .actual_access:  read_only
        .address_space:  global
        .offset:         0
        .size:           8
        .value_kind:     global_buffer
      - .actual_access:  read_only
        .address_space:  global
        .offset:         8
        .size:           8
        .value_kind:     global_buffer
      - .actual_access:  read_only
        .address_space:  global
        .offset:         16
        .size:           8
        .value_kind:     global_buffer
      - .actual_access:  read_only
        .address_space:  global
        .offset:         24
        .size:           8
        .value_kind:     global_buffer
      - .actual_access:  read_only
        .address_space:  global
        .offset:         32
        .size:           8
        .value_kind:     global_buffer
      - .offset:         40
        .size:           8
        .value_kind:     by_value
      - .address_space:  global
        .offset:         48
        .size:           8
        .value_kind:     global_buffer
      - .address_space:  global
        .offset:         56
        .size:           8
        .value_kind:     global_buffer
      - .address_space:  global
        .offset:         64
        .size:           8
        .value_kind:     global_buffer
      - .address_space:  global
        .offset:         72
        .size:           8
        .value_kind:     global_buffer
      - .offset:         80
        .size:           4
        .value_kind:     by_value
      - .address_space:  global
        .offset:         88
        .size:           8
        .value_kind:     global_buffer
      - .address_space:  global
        .offset:         96
        .size:           8
        .value_kind:     global_buffer
    .group_segment_fixed_size: 10976
    .kernarg_segment_align: 8
    .kernarg_segment_size: 104
    .language:       OpenCL C
    .language_version:
      - 2
      - 0
    .max_flat_workgroup_size: 196
    .name:           bluestein_single_fwd_len1372_dim1_half_op_CI_CI
    .private_segment_fixed_size: 0
    .sgpr_count:     24
    .sgpr_spill_count: 0
    .symbol:         bluestein_single_fwd_len1372_dim1_half_op_CI_CI.kd
    .uniform_work_group_size: 1
    .uses_dynamic_stack: false
    .vgpr_count:     118
    .vgpr_spill_count: 0
    .wavefront_size: 64
amdhsa.target:   amdgcn-amd-amdhsa--gfx906
amdhsa.version:
  - 1
  - 2
...

	.end_amdgpu_metadata
